;; amdgpu-corpus repo=ROCm/rocFFT kind=compiled arch=gfx950 opt=O3
	.text
	.amdgcn_target "amdgcn-amd-amdhsa--gfx950"
	.amdhsa_code_object_version 6
	.protected	bluestein_single_back_len1547_dim1_sp_op_CI_CI ; -- Begin function bluestein_single_back_len1547_dim1_sp_op_CI_CI
	.globl	bluestein_single_back_len1547_dim1_sp_op_CI_CI
	.p2align	8
	.type	bluestein_single_back_len1547_dim1_sp_op_CI_CI,@function
bluestein_single_back_len1547_dim1_sp_op_CI_CI: ; @bluestein_single_back_len1547_dim1_sp_op_CI_CI
; %bb.0:
	s_load_dwordx4 s[4:7], s[0:1], 0x28
	v_mul_u32_u24_e32 v1, 0x227, v0
	v_add_u32_sdwa v2, s2, v1 dst_sel:DWORD dst_unused:UNUSED_PAD src0_sel:DWORD src1_sel:WORD_1
	v_mov_b32_e32 v3, 0
	v_accvgpr_write_b32 a0, v2
	s_waitcnt lgkmcnt(0)
	v_cmp_gt_u64_e32 vcc, s[4:5], v[2:3]
	s_and_saveexec_b64 s[2:3], vcc
	s_cbranch_execz .LBB0_23
; %bb.1:
	s_load_dwordx2 s[12:13], s[0:1], 0x0
	s_load_dwordx2 s[14:15], s[0:1], 0x38
	s_movk_i32 s2, 0x77
	v_mul_lo_u16_sdwa v1, v1, s2 dst_sel:DWORD dst_unused:UNUSED_PAD src0_sel:WORD_1 src1_sel:DWORD
	v_sub_u16_e32 v93, v0, v1
	s_movk_i32 s2, 0x5b
	v_cmp_gt_u16_e64 s[4:5], s2, v93
	v_lshlrev_b32_e32 v92, 3, v93
	s_mov_b64 s[2:3], exec
	s_and_b64 s[8:9], s[2:3], s[4:5]
	v_accvgpr_write_b32 a1, v93
	s_mov_b64 exec, s[8:9]
	s_cbranch_execz .LBB0_3
; %bb.2:
	s_load_dwordx2 s[8:9], s[0:1], 0x18
	v_accvgpr_read_b32 v10, a0
	v_mov_b32_e32 v0, s6
	v_mov_b32_e32 v1, s7
	;; [unrolled: 1-line block ×3, first 2 shown]
	s_waitcnt lgkmcnt(0)
	s_load_dwordx4 s[8:11], s[8:9], 0x0
	s_waitcnt lgkmcnt(0)
	v_mad_u64_u32 v[2:3], s[6:7], s10, v10, 0
	v_mad_u64_u32 v[4:5], s[6:7], s8, v93, 0
	v_mov_b32_e32 v6, v3
	v_mov_b32_e32 v8, v5
	v_mad_u64_u32 v[6:7], s[6:7], s11, v10, v[6:7]
	v_mov_b32_e32 v3, v6
	v_mad_u64_u32 v[6:7], s[6:7], s9, v93, v[8:9]
	v_mov_b32_e32 v5, v6
	v_lshl_add_u64 v[0:1], v[2:3], 3, v[0:1]
	v_lshl_add_u64 v[4:5], v[4:5], 3, v[0:1]
	v_mad_u64_u32 v[14:15], s[6:7], s8, v70, v[4:5]
	s_mul_i32 s6, s9, 0x2d8
	s_nop 0
	v_add_u32_e32 v15, s6, v15
	global_load_dwordx2 v[0:1], v[4:5], off
	global_load_dwordx2 v[2:3], v92, s[12:13]
	s_nop 0
	global_load_dwordx2 v[4:5], v92, s[12:13] offset:728
	global_load_dwordx2 v[6:7], v92, s[12:13] offset:1456
	;; [unrolled: 1-line block ×5, first 2 shown]
	global_load_dwordx2 v[20:21], v[14:15], off
	v_mad_u64_u32 v[14:15], s[10:11], s8, v70, v[14:15]
	v_add_u32_e32 v15, s6, v15
	v_mad_u64_u32 v[22:23], s[10:11], s8, v70, v[14:15]
	v_add_u32_e32 v23, s6, v23
	global_load_dwordx2 v[14:15], v[14:15], off
	v_mov_b32_e32 v93, 0
	global_load_dwordx2 v[24:25], v[22:23], off
	v_mad_u64_u32 v[22:23], s[10:11], s8, v70, v[22:23]
	v_add_u32_e32 v23, s6, v23
	global_load_dwordx2 v[26:27], v[22:23], off
	v_mad_u64_u32 v[22:23], s[10:11], s8, v70, v[22:23]
	v_add_u32_e32 v23, s6, v23
	s_movk_i32 s7, 0x1000
	v_lshl_add_u64 v[16:17], s[12:13], 0, v[92:93]
	global_load_dwordx2 v[28:29], v[22:23], off
	v_mad_u64_u32 v[22:23], s[10:11], s8, v70, v[22:23]
	v_add_co_u32_e32 v18, vcc, s7, v16
	v_add_u32_e32 v23, s6, v23
	s_nop 0
	v_addc_co_u32_e32 v19, vcc, 0, v17, vcc
	global_load_dwordx2 v[30:31], v[22:23], off
	global_load_dwordx2 v[32:33], v[18:19], off offset:272
	v_mad_u64_u32 v[22:23], s[10:11], s8, v70, v[22:23]
	v_add_u32_e32 v23, s6, v23
	global_load_dwordx2 v[34:35], v[22:23], off
	global_load_dwordx2 v[36:37], v[18:19], off offset:1000
	global_load_dwordx2 v[38:39], v[18:19], off offset:1728
	;; [unrolled: 1-line block ×3, first 2 shown]
	v_mad_u64_u32 v[22:23], s[10:11], s8, v70, v[22:23]
	v_add_u32_e32 v23, s6, v23
	global_load_dwordx2 v[42:43], v[22:23], off
	v_mad_u64_u32 v[22:23], s[10:11], s8, v70, v[22:23]
	v_add_u32_e32 v23, s6, v23
	global_load_dwordx2 v[44:45], v[22:23], off
	;; [unrolled: 3-line block ×3, first 2 shown]
	global_load_dwordx2 v[48:49], v[18:19], off offset:3184
	v_mad_u64_u32 v[22:23], s[10:11], s8, v70, v[22:23]
	v_add_u32_e32 v23, s6, v23
	s_movk_i32 s9, 0x2000
	global_load_dwordx2 v[50:51], v[22:23], off
	global_load_dwordx2 v[52:53], v[18:19], off offset:3912
	v_mad_u64_u32 v[18:19], s[10:11], s8, v70, v[22:23]
	v_add_co_u32_e32 v16, vcc, s9, v16
	v_add_u32_e32 v19, s6, v19
	s_nop 0
	v_addc_co_u32_e32 v17, vcc, 0, v17, vcc
	global_load_dwordx2 v[22:23], v[18:19], off
	global_load_dwordx2 v[54:55], v[16:17], off offset:544
	v_mad_u64_u32 v[18:19], s[10:11], s8, v70, v[18:19]
	v_add_u32_e32 v19, s6, v19
	global_load_dwordx2 v[56:57], v[18:19], off
	global_load_dwordx2 v[58:59], v[16:17], off offset:1272
	global_load_dwordx2 v[60:61], v[16:17], off offset:2000
	;; [unrolled: 1-line block ×3, first 2 shown]
	v_mad_u64_u32 v[18:19], s[10:11], s8, v70, v[18:19]
	v_add_u32_e32 v19, s6, v19
	global_load_dwordx2 v[64:65], v[18:19], off
	v_mad_u64_u32 v[18:19], s[10:11], s8, v70, v[18:19]
	v_add_u32_e32 v19, s6, v19
	global_load_dwordx2 v[66:67], v[18:19], off
	global_load_dwordx2 v[68:69], v[16:17], off offset:3456
	v_mad_u64_u32 v[16:17], s[8:9], s8, v70, v[18:19]
	v_add_u32_e32 v17, s6, v17
	global_load_dwordx2 v[16:17], v[16:17], off
	v_accvgpr_read_b32 v93, a1
	s_waitcnt vmcnt(32)
	v_mul_f32_e32 v18, v1, v3
	v_mul_f32_e32 v3, v0, v3
	v_fmac_f32_e32 v18, v0, v2
	v_fma_f32 v19, v1, v2, -v3
	s_waitcnt vmcnt(26)
	v_mul_f32_e32 v0, v21, v5
	v_mul_f32_e32 v1, v20, v5
	v_fmac_f32_e32 v0, v20, v4
	v_fma_f32 v1, v21, v4, -v1
	ds_write2_b64 v92, v[18:19], v[0:1] offset1:91
	s_waitcnt vmcnt(25)
	v_mul_f32_e32 v0, v15, v7
	v_mul_f32_e32 v1, v14, v7
	s_waitcnt vmcnt(24)
	v_mul_f32_e32 v2, v25, v9
	v_mul_f32_e32 v3, v24, v9
	v_fmac_f32_e32 v0, v14, v6
	v_fma_f32 v1, v15, v6, -v1
	v_fmac_f32_e32 v2, v24, v8
	v_fma_f32 v3, v25, v8, -v3
	v_add_u32_e32 v4, 0x400, v92
	ds_write2_b64 v4, v[0:1], v[2:3] offset0:54 offset1:145
	s_waitcnt vmcnt(23)
	v_mul_f32_e32 v0, v27, v11
	v_mul_f32_e32 v1, v26, v11
	s_waitcnt vmcnt(22)
	v_mul_f32_e32 v2, v29, v13
	v_mul_f32_e32 v3, v28, v13
	v_fmac_f32_e32 v0, v26, v10
	v_fma_f32 v1, v27, v10, -v1
	v_fmac_f32_e32 v2, v28, v12
	v_fma_f32 v3, v29, v12, -v3
	v_add_u32_e32 v4, 0x800, v92
	ds_write2_b64 v4, v[0:1], v[2:3] offset0:108 offset1:199
	;; [unrolled: 12-line block ×7, first 2 shown]
	s_waitcnt vmcnt(0)
	v_mul_f32_e32 v0, v17, v69
	v_mul_f32_e32 v1, v16, v69
	v_fmac_f32_e32 v0, v16, v68
	v_fma_f32 v1, v17, v68, -v1
	ds_write_b64 v92, v[0:1] offset:11648
.LBB0_3:
	s_or_b64 exec, exec, s[2:3]
	v_mov_b32_e32 v4, 0
	v_mov_b32_e32 v5, 0
	s_waitcnt lgkmcnt(0)
	s_barrier
	s_waitcnt lgkmcnt(0)
                                        ; implicit-def: $vgpr10
                                        ; implicit-def: $vgpr16
                                        ; implicit-def: $vgpr14
                                        ; implicit-def: $vgpr24
                                        ; implicit-def: $vgpr22
                                        ; implicit-def: $vgpr34
                                        ; implicit-def: $vgpr28
                                        ; implicit-def: $vgpr36
	s_and_saveexec_b64 s[2:3], s[4:5]
	s_cbranch_execz .LBB0_5
; %bb.4:
	v_add_u32_e32 v0, 0x400, v92
	ds_read2_b64 v[28:31], v0 offset0:54 offset1:145
	v_add_u32_e32 v0, 0x800, v92
	ds_read2_b64 v[20:23], v0 offset0:108 offset1:199
	;; [unrolled: 2-line block ×6, first 2 shown]
	v_add_u32_e32 v0, 0x2400, v92
	ds_read2_b64 v[4:7], v92 offset1:91
	ds_read2_b64 v[32:35], v0 offset0:122 offset1:213
	ds_read_b64 v[36:37], v92 offset:11648
.LBB0_5:
	s_or_b64 exec, exec, s[2:3]
	s_waitcnt lgkmcnt(0)
	v_pk_add_f32 v[122:123], v[6:7], v[36:37] neg_lo:[0,1] neg_hi:[0,1]
	s_mov_b32 s20, 0xbf2c7751
	v_pk_add_f32 v[118:119], v[36:37], v[6:7]
	v_pk_add_f32 v[124:125], v[28:29], v[34:35] neg_lo:[0,1] neg_hi:[0,1]
	s_mov_b32 s8, 0x3f3d2fb0
	v_pk_mul_f32 v[0:1], v[122:123], s[20:21] op_sel_hi:[1,0]
	s_mov_b32 s6, 0xbf7ee86f
	v_pk_add_f32 v[116:117], v[34:35], v[28:29]
	v_pk_fma_f32 v[44:45], v[118:119], s[8:9], v[0:1] op_sel:[0,0,1] op_sel_hi:[1,0,0]
	v_pk_fma_f32 v[40:41], v[118:119], s[8:9], v[0:1] op_sel:[0,0,1] op_sel_hi:[1,0,0] neg_lo:[0,0,1] neg_hi:[0,0,1]
	s_mov_b32 s2, 0x3dbcf732
	v_pk_mul_f32 v[0:1], v[124:125], s[6:7] op_sel_hi:[1,0]
	s_mov_b32 s16, 0xbf65296c
	s_mov_b32 s22, 0xbf4c4adb
	v_pk_fma_f32 v[46:47], v[116:117], s[2:3], v[0:1] op_sel:[0,0,1] op_sel_hi:[1,0,0]
	v_pk_fma_f32 v[42:43], v[116:117], s[2:3], v[0:1] op_sel:[0,0,1] op_sel_hi:[1,0,0] neg_lo:[0,0,1] neg_hi:[0,0,1]
	s_mov_b32 s10, 0x3ee437d1
	v_pk_mul_f32 v[0:1], v[122:123], s[16:17] op_sel_hi:[1,0]
	s_mov_b32 s18, 0xbf1a4643
	v_pk_mul_f32 v[2:3], v[124:125], s[22:23] op_sel_hi:[1,0]
	v_accvgpr_write_b32 a5, v45
	v_pk_fma_f32 v[48:49], v[116:117], s[18:19], v[2:3] op_sel:[0,0,1] op_sel_hi:[1,0,0]
	v_pk_fma_f32 v[38:39], v[116:117], s[18:19], v[2:3] op_sel:[0,0,1] op_sel_hi:[1,0,0] neg_lo:[0,0,1] neg_hi:[0,0,1]
	v_mov_b32_e32 v2, v44
	v_mov_b32_e32 v3, v41
	v_pk_fma_f32 v[50:51], v[118:119], s[10:11], v[0:1] op_sel:[0,0,1] op_sel_hi:[1,0,0]
	v_pk_fma_f32 v[44:45], v[118:119], s[10:11], v[0:1] op_sel:[0,0,1] op_sel_hi:[1,0,0] neg_lo:[0,0,1] neg_hi:[0,0,1]
	v_pk_add_f32 v[2:3], v[2:3], v[4:5]
	v_mov_b32_e32 v0, v50
	v_mov_b32_e32 v1, v45
	v_accvgpr_write_b32 a7, v47
	v_mov_b32_e32 v47, v43
	v_pk_add_f32 v[0:1], v[0:1], v[4:5]
	v_pk_add_f32 v[2:3], v[46:47], v[2:3]
	v_mov_b32_e32 v46, v48
	v_mov_b32_e32 v47, v39
	v_pk_add_f32 v[172:173], v[30:31], v[32:33] neg_lo:[0,1] neg_hi:[0,1]
	v_pk_add_f32 v[120:121], v[32:33], v[30:31]
	v_pk_add_f32 v[0:1], v[46:47], v[0:1]
	v_pk_mul_f32 v[46:47], v[172:173], s[22:23] op_sel_hi:[1,0]
	v_mov_b32_e32 v41, v49
	v_pk_fma_f32 v[48:49], v[120:121], s[18:19], v[46:47] op_sel:[0,0,1] op_sel_hi:[1,0,0]
	v_pk_fma_f32 v[58:59], v[120:121], s[18:19], v[46:47] op_sel:[0,0,1] op_sel_hi:[1,0,0] neg_lo:[0,0,1] neg_hi:[0,0,1]
	v_mov_b32_e32 v46, v48
	v_mov_b32_e32 v47, v59
	s_mov_b32 s30, 0x3e3c28d5
	v_pk_add_f32 v[2:3], v[46:47], v[2:3]
	s_mov_b32 s28, 0xbf7ba420
	v_pk_mul_f32 v[46:47], v[172:173], s[30:31] op_sel_hi:[1,0]
	v_accvgpr_write_b32 a9, v49
	v_pk_fma_f32 v[48:49], v[120:121], s[28:29], v[46:47] op_sel:[0,0,1] op_sel_hi:[1,0,0]
	v_pk_fma_f32 v[54:55], v[120:121], s[28:29], v[46:47] op_sel:[0,0,1] op_sel_hi:[1,0,0] neg_lo:[0,0,1] neg_hi:[0,0,1]
	v_mov_b32_e32 v46, v48
	v_mov_b32_e32 v47, v55
	s_mov_b32 s42, 0xbe3c28d5
	v_pk_add_f32 v[186:187], v[20:21], v[26:27] neg_lo:[0,1] neg_hi:[0,1]
	v_pk_add_f32 v[0:1], v[46:47], v[0:1]
	v_pk_add_f32 v[134:135], v[26:27], v[20:21]
	v_pk_mul_f32 v[46:47], v[186:187], s[42:43] op_sel:[1,0] op_sel_hi:[0,0]
	v_mov_b32_e32 v43, v49
	v_pk_fma_f32 v[48:49], v[134:135], s[28:29], v[46:47] op_sel_hi:[1,0,1]
	v_pk_fma_f32 v[68:69], v[134:135], s[28:29], v[46:47] op_sel_hi:[1,0,1] neg_lo:[0,0,1] neg_hi:[0,0,1]
	v_mov_b32_e32 v46, v48
	v_mov_b32_e32 v47, v69
	s_mov_b32 s26, 0x3f763a35
	v_pk_add_f32 v[2:3], v[46:47], v[2:3]
	s_mov_b32 s24, 0xbe8c1d8e
	v_pk_mul_f32 v[46:47], v[186:187], s[26:27] op_sel:[1,0] op_sel_hi:[0,0]
	v_accvgpr_write_b32 a15, v49
	v_pk_fma_f32 v[48:49], v[134:135], s[24:25], v[46:47] op_sel_hi:[1,0,1]
	v_pk_fma_f32 v[64:65], v[134:135], s[24:25], v[46:47] op_sel_hi:[1,0,1] neg_lo:[0,0,1] neg_hi:[0,0,1]
	v_mov_b32_e32 v46, v48
	v_mov_b32_e32 v47, v65
	s_mov_b32 s50, 0x3f06c442
	v_pk_add_f32 v[188:189], v[22:23], v[24:25] neg_lo:[0,1] neg_hi:[0,1]
	v_pk_add_f32 v[0:1], v[46:47], v[0:1]
	s_mov_b32 s40, 0xbf59a7d5
	v_pk_add_f32 v[150:151], v[24:25], v[22:23]
	v_pk_mul_f32 v[46:47], v[188:189], s[50:51] op_sel:[1,0] op_sel_hi:[0,0]
	v_accvgpr_write_b32 a13, v49
	v_pk_fma_f32 v[48:49], v[150:151], s[40:41], v[46:47] op_sel_hi:[1,0,1]
	v_pk_fma_f32 v[78:79], v[150:151], s[40:41], v[46:47] op_sel_hi:[1,0,1] neg_lo:[0,0,1] neg_hi:[0,0,1]
	v_mov_b32_e32 v46, v48
	v_mov_b32_e32 v47, v79
	s_mov_b32 s36, 0x3f2c7751
	v_pk_add_f32 v[2:3], v[46:47], v[2:3]
	v_pk_mul_f32 v[46:47], v[188:189], s[36:37] op_sel:[1,0] op_sel_hi:[0,0]
	v_mov_b32_e32 v65, v49
	v_pk_fma_f32 v[48:49], v[150:151], s[8:9], v[46:47] op_sel_hi:[1,0,1]
	v_pk_fma_f32 v[72:73], v[150:151], s[8:9], v[46:47] op_sel_hi:[1,0,1] neg_lo:[0,0,1] neg_hi:[0,0,1]
	v_mov_b32_e32 v46, v48
	v_mov_b32_e32 v47, v73
	v_pk_add_f32 v[204:205], v[12:13], v[18:19] neg_lo:[0,1] neg_hi:[0,1]
	v_pk_add_f32 v[0:1], v[46:47], v[0:1]
	v_pk_add_f32 v[174:175], v[18:19], v[12:13]
	v_pk_mul_f32 v[46:47], v[204:205], s[26:27] op_sel:[1,0] op_sel_hi:[0,0]
	v_accvgpr_write_b32 a17, v49
	v_pk_fma_f32 v[48:49], v[174:175], s[24:25], v[46:47] op_sel_hi:[1,0,1]
	v_pk_fma_f32 v[88:89], v[174:175], s[24:25], v[46:47] op_sel_hi:[1,0,1] neg_lo:[0,0,1] neg_hi:[0,0,1]
	v_mov_b32_e32 v46, v48
	v_mov_b32_e32 v47, v89
	s_mov_b32 s52, 0xbeb8f4ab
	v_pk_add_f32 v[2:3], v[46:47], v[2:3]
	s_mov_b32 s34, 0x3f6eb680
	v_pk_mul_f32 v[46:47], v[204:205], s[52:53] op_sel:[1,0] op_sel_hi:[0,0]
	v_mov_b32_e32 v73, v49
	v_pk_fma_f32 v[48:49], v[174:175], s[34:35], v[46:47] op_sel_hi:[1,0,1]
	v_pk_fma_f32 v[82:83], v[174:175], s[34:35], v[46:47] op_sel_hi:[1,0,1] neg_lo:[0,0,1] neg_hi:[0,0,1]
	v_mov_b32_e32 v46, v48
	v_mov_b32_e32 v47, v83
	s_mov_b32 s44, 0x3f65296c
	v_pk_add_f32 v[220:221], v[14:15], v[16:17] neg_lo:[0,1] neg_hi:[0,1]
	v_pk_add_f32 v[0:1], v[46:47], v[0:1]
	v_pk_add_f32 v[212:213], v[16:17], v[14:15]
	v_pk_mul_f32 v[46:47], v[220:221], s[44:45] op_sel:[1,0] op_sel_hi:[0,0]
	v_accvgpr_write_b32 a19, v49
	v_pk_fma_f32 v[48:49], v[212:213], s[10:11], v[46:47] op_sel_hi:[1,0,1]
	v_pk_fma_f32 v[106:107], v[212:213], s[10:11], v[46:47] op_sel_hi:[1,0,1] neg_lo:[0,0,1] neg_hi:[0,0,1]
	v_mov_b32_e32 v46, v48
	v_mov_b32_e32 v47, v107
	v_pk_add_f32 v[2:3], v[46:47], v[2:3]
	v_pk_mul_f32 v[46:47], v[220:221], s[6:7] op_sel:[1,0] op_sel_hi:[0,0]
	v_mov_b32_e32 v83, v49
	v_pk_fma_f32 v[48:49], v[212:213], s[2:3], v[46:47] op_sel_hi:[1,0,1]
	v_pk_fma_f32 v[98:99], v[212:213], s[2:3], v[46:47] op_sel_hi:[1,0,1] neg_lo:[0,0,1] neg_hi:[0,0,1]
	v_mov_b32_e32 v46, v48
	v_mov_b32_e32 v47, v99
	s_mov_b32 s38, 0x3eb8f4ab
	v_pk_add_f32 v[206:207], v[8:9], v[10:11] neg_lo:[0,1] neg_hi:[0,1]
	v_pk_add_f32 v[0:1], v[46:47], v[0:1]
	v_pk_add_f32 v[202:203], v[10:11], v[8:9]
	v_pk_mul_f32 v[46:47], v[206:207], s[38:39] op_sel:[1,0] op_sel_hi:[0,0]
	v_accvgpr_write_b32 a21, v49
	v_pk_fma_f32 v[48:49], v[202:203], s[34:35], v[46:47] op_sel_hi:[1,0,1]
	v_pk_fma_f32 v[114:115], v[202:203], s[34:35], v[46:47] op_sel_hi:[1,0,1] neg_lo:[0,0,1] neg_hi:[0,0,1]
	s_mov_b32 s46, 0xbf06c442
	v_mov_b32_e32 v46, v48
	v_mov_b32_e32 v47, v115
	v_pk_add_f32 v[2:3], v[46:47], v[2:3]
	v_pk_mul_f32 v[46:47], v[206:207], s[46:47] op_sel:[1,0] op_sel_hi:[0,0]
	v_mov_b32_e32 v99, v49
	v_pk_fma_f32 v[48:49], v[202:203], s[40:41], v[46:47] op_sel_hi:[1,0,1]
	v_pk_fma_f32 v[110:111], v[202:203], s[40:41], v[46:47] op_sel_hi:[1,0,1] neg_lo:[0,0,1] neg_hi:[0,0,1]
	v_mov_b32_e32 v46, v48
	v_mov_b32_e32 v47, v111
	v_pk_add_f32 v[0:1], v[46:47], v[0:1]
	v_pk_mul_f32 v[46:47], v[122:123], s[52:53] op_sel_hi:[1,0]
	v_accvgpr_write_b32 a23, v49
	v_pk_fma_f32 v[48:49], v[118:119], s[34:35], v[46:47] op_sel:[0,0,1] op_sel_hi:[1,0,0]
	v_pk_fma_f32 v[126:127], v[118:119], s[34:35], v[46:47] op_sel:[0,0,1] op_sel_hi:[1,0,0] neg_lo:[0,0,1] neg_hi:[0,0,1]
	v_mov_b32_e32 v69, v49
	v_mov_b32_e32 v46, v48
	v_pk_mul_f32 v[48:49], v[124:125], s[20:21] op_sel_hi:[1,0]
	v_accvgpr_write_b32 a11, v51
	v_mov_b32_e32 v47, v127
	v_pk_fma_f32 v[50:51], v[116:117], s[8:9], v[48:49] op_sel:[0,0,1] op_sel_hi:[1,0,0]
	v_pk_fma_f32 v[130:131], v[116:117], s[8:9], v[48:49] op_sel:[0,0,1] op_sel_hi:[1,0,0] neg_lo:[0,0,1] neg_hi:[0,0,1]
	v_pk_add_f32 v[46:47], v[46:47], v[4:5]
	v_mov_b32_e32 v48, v50
	v_mov_b32_e32 v49, v131
	v_pk_add_f32 v[46:47], v[48:49], v[46:47]
	v_pk_mul_f32 v[48:49], v[124:125], s[44:45] op_sel_hi:[1,0]
	v_mov_b32_e32 v59, v51
	v_pk_fma_f32 v[50:51], v[116:117], s[10:11], v[48:49] op_sel:[0,0,1] op_sel_hi:[1,0,0] neg_lo:[0,0,1] neg_hi:[0,0,1]
	v_pk_fma_f32 v[52:53], v[116:117], s[10:11], v[48:49] op_sel:[0,0,1] op_sel_hi:[1,0,0]
	v_pk_mul_f32 v[56:57], v[116:117], s[10:11] op_sel_hi:[1,0]
	v_mov_b32_e32 v51, v53
	v_pk_mul_f32 v[52:53], v[118:119], s[40:41] op_sel_hi:[1,0]
	v_pk_mul_f32 v[60:61], v[122:123], s[46:47] op_sel_hi:[1,0]
	v_mov_b32_e32 v53, v52
	v_mov_b32_e32 v52, v56
	v_pk_fma_f32 v[62:63], v[118:119], s[40:41], v[60:61] op_sel:[0,0,1] op_sel_hi:[1,0,0] neg_lo:[0,0,1] neg_hi:[0,0,1]
	v_pk_fma_f32 v[66:67], v[118:119], s[40:41], v[60:61] op_sel:[0,0,1] op_sel_hi:[1,0,0]
	v_mov_b32_e32 v60, v49
	v_pk_add_f32 v[52:53], v[52:53], v[60:61]
	v_pk_mul_f32 v[60:61], v[120:121], s[2:3] op_sel_hi:[1,0]
	v_mov_b32_e32 v66, v62
	v_mov_b32_e32 v56, v61
	v_pk_mul_f32 v[60:61], v[172:173], s[6:7] op_sel_hi:[1,0]
	s_mov_b32 s48, 0xbf763a35
	v_pk_fma_f32 v[74:75], v[120:121], s[2:3], v[60:61] op_sel:[0,0,1] op_sel_hi:[1,0,0] neg_lo:[0,0,1] neg_hi:[0,0,1]
	v_pk_fma_f32 v[230:231], v[120:121], s[2:3], v[60:61] op_sel:[0,0,1] op_sel_hi:[1,0,0]
	v_mov_b32_e32 v61, v48
	v_pk_add_f32 v[48:49], v[56:57], v[60:61] neg_lo:[0,1] neg_hi:[0,1]
	v_pk_add_f32 v[56:57], v[66:67], v[4:5]
	v_mov_b32_e32 v39, v48
	v_pk_add_f32 v[100:101], v[50:51], v[56:57]
	v_mov_b32_e32 v50, v53
	v_pk_add_f32 v[50:51], v[50:51], v[4:5]
	v_pk_mul_f32 v[242:243], v[174:175], s[40:41] op_sel_hi:[1,0]
	v_pk_add_f32 v[50:51], v[52:53], v[50:51]
	v_pk_mul_f32 v[250:251], v[174:175], s[8:9] op_sel_hi:[1,0]
	v_accvgpr_write_b32 a4, v50
	v_pk_mul_f32 v[50:51], v[172:173], s[16:17] op_sel_hi:[1,0]
	v_pk_mul_f32 v[246:247], v[204:205], s[46:47] op_sel:[1,0] op_sel_hi:[0,0]
	v_pk_fma_f32 v[52:53], v[120:121], s[10:11], v[50:51] op_sel:[0,0,1] op_sel_hi:[1,0,0]
	v_pk_fma_f32 v[146:147], v[120:121], s[10:11], v[50:51] op_sel:[0,0,1] op_sel_hi:[1,0,0] neg_lo:[0,0,1] neg_hi:[0,0,1]
	v_mov_b32_e32 v50, v52
	v_mov_b32_e32 v51, v147
	v_pk_add_f32 v[46:47], v[50:51], v[46:47]
	v_pk_add_f32 v[50:51], v[62:63], v[4:5]
	v_pk_mul_f32 v[252:253], v[204:205], s[20:21] op_sel:[1,0] op_sel_hi:[0,0]
	v_pk_add_f32 v[50:51], v[48:49], v[50:51]
	v_pk_mul_f32 v[48:49], v[186:187], s[6:7] op_sel:[1,0] op_sel_hi:[0,0]
	v_pk_add_f32 v[236:237], v[38:39], v[50:51]
	v_pk_fma_f32 v[50:51], v[134:135], s[2:3], v[48:49] op_sel_hi:[1,0,1]
	v_pk_fma_f32 v[152:153], v[134:135], s[2:3], v[48:49] op_sel_hi:[1,0,1] neg_lo:[0,0,1] neg_hi:[0,0,1]
	v_mov_b32_e32 v48, v50
	v_mov_b32_e32 v49, v153
	v_pk_add_f32 v[46:47], v[48:49], v[46:47]
	v_pk_mul_f32 v[48:49], v[188:189], s[48:49] op_sel:[1,0] op_sel_hi:[0,0]
	v_mov_b32_e32 v89, v51
	v_pk_fma_f32 v[50:51], v[150:151], s[24:25], v[48:49] op_sel_hi:[1,0,1]
	v_pk_fma_f32 v[156:157], v[150:151], s[24:25], v[48:49] op_sel_hi:[1,0,1] neg_lo:[0,0,1] neg_hi:[0,0,1]
	v_mov_b32_e32 v48, v50
	v_mov_b32_e32 v49, v157
	v_pk_add_f32 v[46:47], v[48:49], v[46:47]
	v_pk_mul_f32 v[48:49], v[204:205], s[22:23] op_sel:[1,0] op_sel_hi:[0,0]
	v_pk_fma_f32 v[158:159], v[174:175], s[18:19], v[48:49] op_sel_hi:[1,0,1]
	v_pk_fma_f32 v[160:161], v[174:175], s[18:19], v[48:49] op_sel_hi:[1,0,1] neg_lo:[0,0,1] neg_hi:[0,0,1]
	v_mov_b32_e32 v48, v158
	v_mov_b32_e32 v49, v161
	v_pk_add_f32 v[46:47], v[48:49], v[46:47]
	v_pk_mul_f32 v[48:49], v[220:221], s[46:47] op_sel:[1,0] op_sel_hi:[0,0]
	;; [unrolled: 6-line block ×3, first 2 shown]
	v_pk_fma_f32 v[178:179], v[202:203], s[28:29], v[48:49] op_sel_hi:[1,0,1]
	v_pk_fma_f32 v[180:181], v[202:203], s[28:29], v[48:49] op_sel_hi:[1,0,1] neg_lo:[0,0,1] neg_hi:[0,0,1]
	v_mov_b32_e32 v48, v178
	v_mov_b32_e32 v49, v181
	v_pk_add_f32 v[46:47], v[48:49], v[46:47]
	v_mov_b32_e32 v107, v51
	v_accvgpr_write_b32 a2, v46
	v_accvgpr_write_b32 a3, v47
	v_pk_mul_f32 v[46:47], v[122:123], s[48:49] op_sel_hi:[1,0]
	v_pk_mul_f32 v[60:61], v[122:123], s[6:7] op_sel_hi:[1,0]
	v_pk_fma_f32 v[48:49], v[118:119], s[24:25], v[46:47] op_sel:[0,0,1] op_sel_hi:[1,0,0]
	v_pk_fma_f32 v[136:137], v[118:119], s[24:25], v[46:47] op_sel:[0,0,1] op_sel_hi:[1,0,0] neg_lo:[0,0,1] neg_hi:[0,0,1]
	v_accvgpr_write_b32 a25, v49
	v_mov_b32_e32 v46, v48
	v_pk_mul_f32 v[48:49], v[124:125], s[50:51] op_sel_hi:[1,0]
	v_mov_b32_e32 v47, v137
	v_pk_fma_f32 v[50:51], v[116:117], s[40:41], v[48:49] op_sel:[0,0,1] op_sel_hi:[1,0,0]
	v_pk_fma_f32 v[140:141], v[116:117], s[40:41], v[48:49] op_sel:[0,0,1] op_sel_hi:[1,0,0] neg_lo:[0,0,1] neg_hi:[0,0,1]
	v_mov_b32_e32 v48, v50
	v_mov_b32_e32 v49, v141
	v_pk_add_f32 v[46:47], v[46:47], v[4:5]
	s_mov_b32 s50, 0x3f7ee86f
	v_pk_add_f32 v[46:47], v[48:49], v[46:47]
	v_pk_mul_f32 v[48:49], v[172:173], s[36:37] op_sel_hi:[1,0]
	v_accvgpr_write_b32 a27, v51
	v_pk_fma_f32 v[162:163], v[120:121], s[8:9], v[48:49] op_sel:[0,0,1] op_sel_hi:[1,0,0]
	v_pk_fma_f32 v[164:165], v[120:121], s[8:9], v[48:49] op_sel:[0,0,1] op_sel_hi:[1,0,0] neg_lo:[0,0,1] neg_hi:[0,0,1]
	v_mov_b32_e32 v48, v162
	v_mov_b32_e32 v49, v165
	v_pk_add_f32 v[46:47], v[48:49], v[46:47]
	v_pk_mul_f32 v[48:49], v[186:187], s[16:17] op_sel:[1,0] op_sel_hi:[0,0]
	v_pk_fma_f32 v[170:171], v[134:135], s[10:11], v[48:49] op_sel_hi:[1,0,1]
	v_pk_fma_f32 v[176:177], v[134:135], s[10:11], v[48:49] op_sel_hi:[1,0,1] neg_lo:[0,0,1] neg_hi:[0,0,1]
	v_mov_b32_e32 v48, v170
	v_mov_b32_e32 v49, v177
	v_pk_add_f32 v[46:47], v[48:49], v[46:47]
	v_pk_mul_f32 v[48:49], v[188:189], s[42:43] op_sel:[1,0] op_sel_hi:[0,0]
	v_pk_fma_f32 v[182:183], v[150:151], s[28:29], v[48:49] op_sel_hi:[1,0,1]
	v_pk_fma_f32 v[184:185], v[150:151], s[28:29], v[48:49] op_sel_hi:[1,0,1] neg_lo:[0,0,1] neg_hi:[0,0,1]
	;; [unrolled: 6-line block ×5, first 2 shown]
	v_mov_b32_e32 v48, v198
	v_mov_b32_e32 v49, v201
	v_pk_add_f32 v[48:49], v[48:49], v[46:47]
	v_mov_b32_e32 v46, v243
	v_mov_b32_e32 v47, v250
	;; [unrolled: 1-line block ×4, first 2 shown]
	v_pk_mul_f32 v[62:63], v[122:123], s[22:23] op_sel_hi:[1,0]
	v_pk_add_f32 v[56:57], v[46:47], v[50:51] neg_lo:[0,1] neg_hi:[0,1]
	v_pk_add_f32 v[46:47], v[46:47], v[50:51]
	v_pk_fma_f32 v[210:211], v[118:119], s[2:3], v[60:61] op_sel:[0,0,1] op_sel_hi:[1,0,0] neg_lo:[0,0,1] neg_hi:[0,0,1]
	v_pk_fma_f32 v[254:255], v[118:119], s[18:19], v[62:63] op_sel:[0,0,1] op_sel_hi:[1,0,0]
	v_pk_mul_f32 v[66:67], v[124:125], s[42:43] op_sel_hi:[1,0]
	v_pk_mul_f32 v[70:71], v[124:125], s[26:27] op_sel_hi:[1,0]
	v_mov_b32_e32 v57, v47
	v_mov_b32_e32 v46, v254
	;; [unrolled: 1-line block ×3, first 2 shown]
	v_pk_fma_f32 v[214:215], v[116:117], s[28:29], v[66:67] op_sel:[0,0,1] op_sel_hi:[1,0,0] neg_lo:[0,0,1] neg_hi:[0,0,1]
	v_pk_fma_f32 v[94:95], v[116:117], s[24:25], v[70:71] op_sel:[0,0,1] op_sel_hi:[1,0,0]
	v_pk_add_f32 v[46:47], v[46:47], v[4:5]
	v_mov_b32_e32 v50, v94
	v_mov_b32_e32 v51, v215
	v_pk_mul_f32 v[76:77], v[172:173], s[26:27] op_sel_hi:[1,0]
	v_pk_mul_f32 v[80:81], v[172:173], s[52:53] op_sel_hi:[1,0]
	v_pk_add_f32 v[50:51], v[50:51], v[46:47]
	v_pk_fma_f32 v[222:223], v[120:121], s[24:25], v[76:77] op_sel:[0,0,1] op_sel_hi:[1,0,0] neg_lo:[0,0,1] neg_hi:[0,0,1]
	v_pk_fma_f32 v[46:47], v[120:121], s[34:35], v[80:81] op_sel:[0,0,1] op_sel_hi:[1,0,0]
	v_mov_b32_e32 v79, v53
	v_mov_b32_e32 v52, v46
	;; [unrolled: 1-line block ×3, first 2 shown]
	v_pk_mul_f32 v[84:85], v[186:187], s[38:39] op_sel:[1,0] op_sel_hi:[0,0]
	v_pk_mul_f32 v[96:97], v[186:187], s[46:47] op_sel:[1,0] op_sel_hi:[0,0]
	v_pk_add_f32 v[52:53], v[52:53], v[50:51]
	v_pk_fma_f32 v[226:227], v[134:135], s[34:35], v[84:85] op_sel_hi:[1,0,1] neg_lo:[0,0,1] neg_hi:[0,0,1]
	v_pk_fma_f32 v[50:51], v[134:135], s[40:41], v[96:97] op_sel_hi:[1,0,1]
	v_mov_b32_e32 v103, v227
	v_mov_b32_e32 v102, v50
	v_pk_mul_f32 v[228:229], v[188:189], s[16:17] op_sel:[1,0] op_sel_hi:[0,0]
	v_pk_mul_f32 v[238:239], v[188:189], s[50:51] op_sel:[1,0] op_sel_hi:[0,0]
	v_pk_add_f32 v[102:103], v[102:103], v[52:53]
	v_pk_fma_f32 v[232:233], v[150:151], s[10:11], v[228:229] op_sel_hi:[1,0,1] neg_lo:[0,0,1] neg_hi:[0,0,1]
	v_pk_fma_f32 v[52:53], v[150:151], s[2:3], v[238:239] op_sel_hi:[1,0,1]
	v_mov_b32_e32 v209, v233
	v_mov_b32_e32 v208, v52
	v_pk_add_f32 v[102:103], v[208:209], v[102:103]
	s_mov_b32 s47, s20
	v_pk_add_f32 v[102:103], v[56:57], v[102:103] op_sel:[0,1] op_sel_hi:[1,0]
	v_pk_fma_f32 v[208:209], v[134:135], s[40:41], v[96:97] op_sel_hi:[1,0,1] neg_lo:[0,0,1] neg_hi:[0,0,1]
	s_mov_b32 s41, s8
	v_pk_mul_f32 v[56:57], v[204:205], s[46:47] op_sel:[1,0] op_sel_hi:[0,1]
	v_pk_fma_f32 v[240:241], v[174:175], s[40:41], v[56:57]
	v_pk_fma_f32 v[56:57], v[174:175], s[40:41], v[56:57] neg_lo:[0,0,1] neg_hi:[0,0,1]
	v_pk_fma_f32 v[60:61], v[118:119], s[2:3], v[60:61] op_sel:[0,0,1] op_sel_hi:[1,0,0]
	v_pk_fma_f32 v[218:219], v[118:119], s[18:19], v[62:63] op_sel:[0,0,1] op_sel_hi:[1,0,0] neg_lo:[0,0,1] neg_hi:[0,0,1]
	v_mov_b32_e32 v241, v57
	v_pk_fma_f32 v[56:57], v[116:117], s[28:29], v[66:67] op_sel:[0,0,1] op_sel_hi:[1,0,0]
	v_pk_fma_f32 v[216:217], v[116:117], s[24:25], v[70:71] op_sel:[0,0,1] op_sel_hi:[1,0,0] neg_lo:[0,0,1] neg_hi:[0,0,1]
	v_mov_b32_e32 v62, v60
	v_mov_b32_e32 v63, v219
	v_pk_add_f32 v[62:63], v[62:63], v[4:5]
	v_mov_b32_e32 v66, v56
	v_mov_b32_e32 v67, v217
	v_pk_add_f32 v[66:67], v[66:67], v[62:63]
	v_pk_fma_f32 v[62:63], v[120:121], s[24:25], v[76:77] op_sel:[0,0,1] op_sel_hi:[1,0,0]
	v_pk_fma_f32 v[224:225], v[120:121], s[34:35], v[80:81] op_sel:[0,0,1] op_sel_hi:[1,0,0] neg_lo:[0,0,1] neg_hi:[0,0,1]
	v_mov_b32_e32 v70, v62
	v_mov_b32_e32 v71, v225
	v_pk_fma_f32 v[96:97], v[134:135], s[34:35], v[84:85] op_sel_hi:[1,0,1]
	v_pk_add_f32 v[66:67], v[70:71], v[66:67]
	v_mov_b32_e32 v70, v96
	v_mov_b32_e32 v71, v209
	v_pk_add_f32 v[70:71], v[70:71], v[66:67]
	v_pk_fma_f32 v[66:67], v[150:151], s[10:11], v[228:229] op_sel_hi:[1,0,1]
	v_pk_fma_f32 v[228:229], v[150:151], s[2:3], v[238:239] op_sel_hi:[1,0,1] neg_lo:[0,0,1] neg_hi:[0,0,1]
	v_pk_mul_f32 v[86:87], v[188:189], s[52:53] op_sel:[1,0] op_sel_hi:[0,0]
	s_mov_b32 s52, 0x3f4c4adb
	v_mov_b32_e32 v76, v66
	v_mov_b32_e32 v77, v229
	v_mov_b32_e32 v75, v231
	v_pk_mul_f32 v[108:109], v[186:187], s[52:53] op_sel:[1,0] op_sel_hi:[0,0]
	v_pk_add_f32 v[70:71], v[76:77], v[70:71]
	v_pk_add_f32 v[74:75], v[74:75], v[100:101]
	v_pk_fma_f32 v[112:113], v[134:135], s[18:19], v[108:109] op_sel_hi:[1,0,1] neg_lo:[0,0,1] neg_hi:[0,0,1]
	v_pk_fma_f32 v[100:101], v[134:135], s[18:19], v[108:109] op_sel_hi:[1,0,1]
	v_pk_add_f32 v[76:77], v[240:241], v[70:71]
	v_pk_fma_f32 v[70:71], v[150:151], s[34:35], v[86:87] op_sel_hi:[1,0,1] neg_lo:[0,0,1] neg_hi:[0,0,1]
	v_pk_fma_f32 v[80:81], v[150:151], s[34:35], v[86:87] op_sel_hi:[1,0,1]
	v_pk_mul_f32 v[90:91], v[204:205], s[42:43] op_sel:[1,0] op_sel_hi:[0,0]
	v_mov_b32_e32 v100, v112
	v_mov_b32_e32 v71, v81
	v_pk_fma_f32 v[80:81], v[174:175], s[28:29], v[90:91] op_sel_hi:[1,0,1] neg_lo:[0,0,1] neg_hi:[0,0,1]
	v_pk_fma_f32 v[84:85], v[174:175], s[28:29], v[90:91] op_sel_hi:[1,0,1]
	v_pk_add_f32 v[74:75], v[100:101], v[74:75]
	v_mov_b32_e32 v81, v85
	v_pk_add_f32 v[70:71], v[70:71], v[74:75]
	v_pk_mul_f32 v[104:105], v[220:221], s[36:37] op_sel:[1,0] op_sel_hi:[0,0]
	v_pk_add_f32 v[74:75], v[80:81], v[70:71]
	v_pk_mul_f32 v[70:71], v[220:221], s[52:53] op_sel:[1,0] op_sel_hi:[0,0]
	v_pk_mul_f32 v[100:101], v[220:221], s[42:43] op_sel:[1,0] op_sel_hi:[0,0]
	v_pk_fma_f32 v[84:85], v[212:213], s[8:9], v[104:105] op_sel_hi:[1,0,1] neg_lo:[0,0,1] neg_hi:[0,0,1]
	v_pk_fma_f32 v[238:239], v[212:213], s[8:9], v[104:105] op_sel_hi:[1,0,1]
	v_pk_fma_f32 v[244:245], v[212:213], s[18:19], v[70:71] op_sel_hi:[1,0,1] neg_lo:[0,0,1] neg_hi:[0,0,1]
	v_pk_fma_f32 v[80:81], v[212:213], s[28:29], v[100:101] op_sel_hi:[1,0,1]
	v_mov_b32_e32 v85, v239
	v_mov_b32_e32 v238, v245
	;; [unrolled: 1-line block ×3, first 2 shown]
	v_pk_add_f32 v[102:103], v[238:239], v[102:103]
	v_pk_fma_f32 v[70:71], v[212:213], s[18:19], v[70:71] op_sel_hi:[1,0,1]
	v_pk_fma_f32 v[238:239], v[212:213], s[28:29], v[100:101] op_sel_hi:[1,0,1] neg_lo:[0,0,1] neg_hi:[0,0,1]
	v_mov_b32_e32 v100, v70
	v_mov_b32_e32 v101, v239
	v_pk_add_f32 v[100:101], v[100:101], v[76:77]
	v_pk_mul_f32 v[76:77], v[206:207], s[36:37] op_sel:[1,0] op_sel_hi:[0,0]
	v_pk_mul_f32 v[240:241], v[206:207], s[44:45] op_sel:[1,0] op_sel_hi:[0,0]
	v_pk_add_f32 v[74:75], v[84:85], v[74:75]
	v_pk_fma_f32 v[248:249], v[202:203], s[8:9], v[76:77] op_sel_hi:[1,0,1] neg_lo:[0,0,1] neg_hi:[0,0,1]
	v_pk_fma_f32 v[84:85], v[202:203], s[10:11], v[240:241] op_sel_hi:[1,0,1]
	v_mov_b32_e32 v128, v249
	v_mov_b32_e32 v129, v84
	v_pk_fma_f32 v[76:77], v[202:203], s[8:9], v[76:77] op_sel_hi:[1,0,1]
	v_pk_fma_f32 v[240:241], v[202:203], s[10:11], v[240:241] op_sel_hi:[1,0,1] neg_lo:[0,0,1] neg_hi:[0,0,1]
	v_pk_add_f32 v[102:103], v[128:129], v[102:103]
	v_mov_b32_e32 v128, v76
	v_mov_b32_e32 v129, v241
	v_pk_add_f32 v[100:101], v[128:129], v[100:101]
	v_pk_mul_f32 v[128:129], v[206:207], s[48:49] op_sel:[1,0] op_sel_hi:[0,0]
	v_pk_fma_f32 v[138:139], v[202:203], s[24:25], v[128:129] op_sel_hi:[1,0,1] neg_lo:[0,0,1] neg_hi:[0,0,1]
	v_pk_fma_f32 v[132:133], v[202:203], s[24:25], v[128:129] op_sel_hi:[1,0,1]
	v_pk_mul_f32 v[144:145], v[122:123], s[42:43] op_sel_hi:[1,0]
	v_mov_b32_e32 v139, v133
	v_pk_add_f32 v[74:75], v[138:139], v[74:75]
	v_pk_fma_f32 v[132:133], v[118:119], s[28:29], v[144:145] op_sel:[0,0,1] op_sel_hi:[1,0,0]
	v_pk_fma_f32 v[138:139], v[118:119], s[28:29], v[144:145] op_sel:[0,0,1] op_sel_hi:[1,0,0] neg_lo:[0,0,1] neg_hi:[0,0,1]
	v_pk_mul_f32 v[118:119], v[118:119], s[28:29] op_sel_hi:[1,0]
	v_pk_mul_f32 v[124:125], v[124:125], s[38:39] op_sel_hi:[1,0]
	;; [unrolled: 1-line block ×3, first 2 shown]
	v_mov_b32_e32 v133, v139
	v_mov_b32_e32 v138, v142
	;; [unrolled: 1-line block ×5, first 2 shown]
	v_pk_add_f32 v[122:123], v[138:139], v[122:123] neg_lo:[0,1] neg_hi:[0,1]
	v_mov_b32_e32 v118, v143
	v_mov_b32_e32 v139, v144
	;; [unrolled: 1-line block ×3, first 2 shown]
	v_pk_add_f32 v[118:119], v[138:139], v[118:119]
	v_pk_fma_f32 v[138:139], v[116:117], s[34:35], v[124:125] op_sel:[0,0,1] op_sel_hi:[1,0,0]
	v_pk_fma_f32 v[116:117], v[116:117], s[34:35], v[124:125] op_sel:[0,0,1] op_sel_hi:[1,0,0] neg_lo:[0,0,1] neg_hi:[0,0,1]
	v_pk_mul_f32 v[154:155], v[220:221], s[48:49] op_sel:[1,0] op_sel_hi:[0,0]
	v_mov_b32_e32 v139, v117
	v_pk_mul_f32 v[116:117], v[172:173], s[46:47] op_sel_hi:[1,0]
	v_mov_b32_e32 v46, v123
	v_pk_fma_f32 v[124:125], v[120:121], s[40:41], v[116:117] op_sel:[0,0,1] op_sel_hi:[1,0,0] neg_lo:[0,0,1] neg_hi:[0,0,1]
	v_pk_fma_f32 v[116:117], v[120:121], s[40:41], v[116:117] op_sel:[0,0,1] op_sel_hi:[1,0,0]
	v_pk_mul_f32 v[120:121], v[188:189], s[22:23] op_sel:[1,0] op_sel_hi:[0,0]
	v_pk_fma_f32 v[142:143], v[150:151], s[18:19], v[120:121] op_sel_hi:[1,0,1]
	v_pk_fma_f32 v[144:145], v[150:151], s[18:19], v[120:121] op_sel_hi:[1,0,1] neg_lo:[0,0,1] neg_hi:[0,0,1]
	v_pk_add_f32 v[132:133], v[132:133], v[4:5]
	v_mov_b32_e32 v143, v145
	v_pk_mul_f32 v[144:145], v[204:205], s[44:45] op_sel:[1,0] op_sel_hi:[0,0]
	v_pk_fma_f32 v[148:149], v[174:175], s[10:11], v[144:145] op_sel_hi:[1,0,1]
	v_pk_fma_f32 v[172:173], v[174:175], s[10:11], v[144:145] op_sel_hi:[1,0,1] neg_lo:[0,0,1] neg_hi:[0,0,1]
	v_pk_add_f32 v[132:133], v[138:139], v[132:133]
	v_mov_b32_e32 v149, v173
	v_pk_mul_f32 v[172:173], v[212:213], s[24:25] op_sel_hi:[1,0]
	v_mov_b32_e32 v138, v116
	v_mov_b32_e32 v172, v173
	;; [unrolled: 1-line block ×3, first 2 shown]
	v_pk_mul_f32 v[104:105], v[212:213], s[8:9] op_sel_hi:[1,0]
	v_mov_b32_e32 v139, v125
	v_mov_b32_e32 v105, v104
	;; [unrolled: 1-line block ×3, first 2 shown]
	v_pk_add_f32 v[104:105], v[104:105], v[172:173]
	v_pk_mul_f32 v[172:173], v[202:203], s[24:25] op_sel_hi:[1,0]
	s_mov_b32 s25, s8
	v_pk_fma_f32 v[234:235], v[212:213], s[24:25], v[154:155] op_sel_hi:[1,0,1]
	v_pk_fma_f32 v[154:155], v[212:213], s[24:25], v[154:155] op_sel_hi:[1,0,1] neg_lo:[0,0,1] neg_hi:[0,0,1]
	v_pk_add_f32 v[132:133], v[138:139], v[132:133]
	v_mov_b32_e32 v235, v155
	v_pk_add_f32 v[154:155], v[46:47], v[4:5]
	v_pk_mul_f32 v[138:139], v[186:187], s[36:37] op_sel:[1,0] op_sel_hi:[0,0]
	v_pk_add_f32 v[122:123], v[122:123], v[154:155]
	v_pk_add_f32 v[154:155], v[118:119], v[4:5]
	v_pk_fma_f32 v[186:187], v[134:135], s[8:9], v[138:139] op_sel_hi:[1,0,1]
	v_mov_b32_e32 v46, v155
	v_pk_fma_f32 v[154:155], v[134:135], s[8:9], v[138:139] op_sel_hi:[1,0,1] neg_lo:[0,0,1] neg_hi:[0,0,1]
	v_pk_add_f32 v[122:123], v[124:125], v[122:123]
	v_mov_b32_e32 v187, v155
	v_mov_b32_e32 v123, v113
	;; [unrolled: 1-line block ×3, first 2 shown]
	v_pk_add_f32 v[112:113], v[122:123], v[154:155]
	v_pk_mul_f32 v[122:123], v[134:135], s[18:19] op_sel_hi:[1,0]
	v_pk_mul_f32 v[134:135], v[134:135], s[8:9] op_sel_hi:[1,0]
	v_pk_add_f32 v[132:133], v[186:187], v[132:133]
	s_mov_b32 s53, s38
	v_mov_b32_e32 v138, v139
	v_mov_b32_e32 v139, v230
	;; [unrolled: 1-line block ×3, first 2 shown]
	v_accvgpr_read_b32 v135, a4
	v_pk_add_f32 v[118:119], v[118:119], v[46:47]
	v_pk_add_f32 v[132:133], v[142:143], v[132:133]
	v_pk_mul_f32 v[124:125], v[150:151], s[18:19] op_sel_hi:[1,0]
	s_mov_b32 s19, s34
	v_pk_mul_f32 v[142:143], v[188:189], s[52:53] op_sel:[1,0] op_sel_hi:[0,1]
	v_pk_add_f32 v[134:135], v[138:139], v[134:135]
	v_pk_mul_f32 v[138:139], v[150:151], s[34:35] op_sel_hi:[1,0]
	v_pk_fma_f32 v[142:143], v[150:151], s[18:19], v[142:143]
	v_mov_b32_e32 v120, v121
	v_mov_b32_e32 v121, v138
	;; [unrolled: 1-line block ×7, first 2 shown]
	v_pk_add_f32 v[112:113], v[142:143], v[112:113]
	v_pk_mul_f32 v[142:143], v[174:175], s[10:11] op_sel_hi:[1,0]
	v_pk_add_f32 v[86:87], v[120:121], v[124:125]
	v_pk_mul_f32 v[120:121], v[174:175], s[28:29] op_sel_hi:[1,0]
	v_pk_add_f32 v[108:109], v[116:117], v[118:119]
	s_mov_b32 s17, s30
	v_mov_b32_e32 v124, v145
	v_mov_b32_e32 v125, v120
	;; [unrolled: 1-line block ×4, first 2 shown]
	v_pk_add_f32 v[108:109], v[108:109], v[134:135]
	s_mov_b32 s27, s20
	s_mov_b32 s11, s28
	v_pk_mul_f32 v[154:155], v[204:205], s[16:17] op_sel:[1,0] op_sel_hi:[0,1]
	v_pk_add_f32 v[90:91], v[124:125], v[120:121]
	v_pk_add_f32 v[86:87], v[86:87], v[108:109]
	v_pk_mul_f32 v[220:221], v[220:221], s[26:27] op_sel:[1,0] op_sel_hi:[0,1]
	v_pk_fma_f32 v[154:155], v[174:175], s[10:11], v[154:155]
	v_pk_add_f32 v[86:87], v[90:91], v[86:87]
	v_pk_fma_f32 v[220:221], v[212:213], s[24:25], v[220:221]
	v_pk_add_f32 v[112:113], v[154:155], v[112:113]
	v_pk_add_f32 v[86:87], v[104:105], v[86:87]
	v_pk_mul_f32 v[104:105], v[202:203], s[2:3] op_sel_hi:[1,0]
	v_pk_mul_f32 v[120:121], v[206:207], s[50:51] op_sel:[1,0] op_sel_hi:[0,0]
	v_pk_add_f32 v[108:109], v[220:221], v[112:113]
	v_mov_b32_e32 v104, v105
	v_mov_b32_e32 v105, v172
	v_mov_b32_e32 v113, v128
	v_mov_b32_e32 v112, v121
	v_pk_add_f32 v[104:105], v[104:105], v[112:113]
	s_mov_b32 s3, s24
	s_mov_b32 s7, s26
	v_pk_add_f32 v[90:91], v[148:149], v[132:133]
	v_pk_mul_f32 v[112:113], v[206:207], s[6:7] op_sel:[1,0] op_sel_hi:[0,1]
	v_pk_add_f32 v[118:119], v[104:105], v[86:87]
	v_pk_fma_f32 v[86:87], v[202:203], s[2:3], v[120:121] op_sel_hi:[1,0,1]
	v_pk_fma_f32 v[104:105], v[202:203], s[2:3], v[120:121] op_sel_hi:[1,0,1] neg_lo:[0,0,1] neg_hi:[0,0,1]
	v_pk_add_f32 v[90:91], v[234:235], v[90:91]
	v_pk_fma_f32 v[112:113], v[202:203], s[2:3], v[112:113]
	v_mov_b32_e32 v87, v105
	v_mul_lo_u16_e32 v39, 17, v93
	v_pk_add_f32 v[116:117], v[112:113], v[108:109]
	v_pk_add_f32 v[120:121], v[86:87], v[90:91]
	v_accvgpr_write_b32 a4, v39
	s_barrier
	s_and_saveexec_b64 s[2:3], s[4:5]
	s_cbranch_execz .LBB0_7
; %bb.6:
	v_pk_add_f32 v[6:7], v[6:7], v[4:5]
	v_mov_b32_e32 v127, v69
	v_pk_add_f32 v[6:7], v[28:29], v[6:7]
	v_mov_b32_e32 v131, v59
	;; [unrolled: 2-line block ×7, first 2 shown]
	v_pk_add_f32 v[6:7], v[8:9], v[6:7]
	v_pk_add_f32 v[8:9], v[126:127], v[4:5]
	;; [unrolled: 1-line block ×13, first 2 shown]
	v_accvgpr_read_b32 v20, a4
	v_pk_add_f32 v[6:7], v[34:35], v[6:7]
	v_pk_add_f32 v[8:9], v[168:169], v[8:9]
	v_mov_b32_e32 v181, v179
	v_accvgpr_read_b32 v45, a11
	v_mov_b32_e32 v39, v41
	v_accvgpr_read_b32 v41, a5
	v_lshlrev_b32_e32 v20, 3, v20
	v_pk_add_f32 v[6:7], v[36:37], v[6:7]
	v_pk_add_f32 v[8:9], v[180:181], v[8:9]
	v_mov_b32_e32 v55, v43
	v_accvgpr_read_b32 v43, a7
	ds_write2_b64 v20, v[6:7], v[8:9] offset1:1
	v_pk_add_f32 v[6:7], v[40:41], v[4:5]
	v_pk_add_f32 v[8:9], v[44:45], v[4:5]
	;; [unrolled: 1-line block ×3, first 2 shown]
	v_accvgpr_read_b32 v59, a9
	v_pk_add_f32 v[8:9], v[38:39], v[8:9]
	v_pk_add_f32 v[6:7], v[58:59], v[6:7]
	v_accvgpr_read_b32 v69, a15
	v_mov_b32_e32 v79, v65
	v_pk_add_f32 v[8:9], v[54:55], v[8:9]
	v_accvgpr_read_b32 v65, a13
	v_pk_add_f32 v[6:7], v[68:69], v[6:7]
	v_mov_b32_e32 v89, v73
	v_pk_add_f32 v[8:9], v[64:65], v[8:9]
	v_accvgpr_read_b32 v73, a17
	v_pk_add_f32 v[6:7], v[78:79], v[6:7]
	;; [unrolled: 4-line block ×4, first 2 shown]
	v_pk_add_f32 v[8:9], v[98:99], v[8:9]
	v_accvgpr_read_b32 v111, a23
	v_mov_b32_e32 v219, v255
	v_mov_b32_e32 v211, v61
	v_pk_add_f32 v[6:7], v[114:115], v[6:7]
	v_pk_add_f32 v[8:9], v[110:111], v[8:9]
	v_accvgpr_read_b32 v137, a25
	v_mov_b32_e32 v217, v95
	ds_write2_b64 v20, v[6:7], v[8:9] offset0:2 offset1:3
	v_pk_add_f32 v[6:7], v[210:211], v[4:5]
	v_pk_add_f32 v[8:9], v[136:137], v[4:5]
	;; [unrolled: 1-line block ×3, first 2 shown]
	v_mov_b32_e32 v225, v47
	v_mov_b32_e32 v215, v57
	v_accvgpr_read_b32 v141, a27
	v_pk_add_f32 v[4:5], v[216:217], v[4:5]
	v_mov_b32_e32 v209, v51
	v_mov_b32_e32 v223, v63
	v_pk_add_f32 v[6:7], v[214:215], v[6:7]
	v_pk_add_f32 v[8:9], v[140:141], v[8:9]
	v_mov_b32_e32 v165, v163
	v_pk_add_f32 v[4:5], v[224:225], v[4:5]
	v_mov_b32_e32 v229, v53
	v_pk_add_f32 v[46:47], v[250:251], v[252:253] neg_lo:[0,1] neg_hi:[0,1]
	v_pk_add_f32 v[50:51], v[250:251], v[252:253]
	v_mov_b32_e32 v227, v97
	v_pk_add_f32 v[6:7], v[222:223], v[6:7]
	v_pk_add_f32 v[8:9], v[164:165], v[8:9]
	v_mov_b32_e32 v177, v171
	v_pk_add_f32 v[4:5], v[208:209], v[4:5]
	v_mov_b32_e32 v47, v51
	v_mov_b32_e32 v233, v67
	v_pk_add_f32 v[50:51], v[242:243], v[246:247] neg_lo:[0,1] neg_hi:[0,1]
	v_pk_add_f32 v[52:53], v[242:243], v[246:247]
	v_pk_add_f32 v[6:7], v[226:227], v[6:7]
	;; [unrolled: 1-line block ×3, first 2 shown]
	v_mov_b32_e32 v185, v183
	v_pk_add_f32 v[4:5], v[228:229], v[4:5]
	v_mov_b32_e32 v239, v81
	v_mov_b32_e32 v51, v53
	v_pk_add_f32 v[6:7], v[232:233], v[6:7]
	v_pk_add_f32 v[8:9], v[184:185], v[8:9]
	v_mov_b32_e32 v193, v191
	v_pk_add_f32 v[4:5], v[46:47], v[4:5]
	v_mov_b32_e32 v241, v85
	v_mov_b32_e32 v245, v71
	v_pk_add_f32 v[6:7], v[50:51], v[6:7]
	v_pk_add_f32 v[8:9], v[192:193], v[8:9]
	v_mov_b32_e32 v197, v195
	v_pk_add_f32 v[4:5], v[238:239], v[4:5]
	v_mov_b32_e32 v249, v77
	v_pk_add_f32 v[6:7], v[244:245], v[6:7]
	v_pk_add_f32 v[8:9], v[196:197], v[8:9]
	v_mov_b32_e32 v201, v199
	v_pk_add_f32 v[4:5], v[240:241], v[4:5]
	v_pk_add_f32 v[6:7], v[248:249], v[6:7]
	;; [unrolled: 1-line block ×3, first 2 shown]
	ds_write2_b64 v20, v[4:5], v[74:75] offset0:6 offset1:7
	v_mov_b32_e32 v4, v116
	v_mov_b32_e32 v5, v118
	ds_write2_b64 v20, v[6:7], v[8:9] offset0:4 offset1:5
	ds_write2_b64 v20, v[4:5], v[120:121] offset0:8 offset1:9
	v_mov_b32_e32 v4, v119
	v_mov_b32_e32 v5, v117
	;; [unrolled: 1-line block ×4, first 2 shown]
	ds_write2_b64 v20, v[4:5], v[6:7] offset0:10 offset1:11
	v_mov_b32_e32 v4, v100
	v_mov_b32_e32 v5, v102
	ds_write2_b64 v20, v[48:49], v[4:5] offset0:12 offset1:13
	ds_write2_b64 v20, v[0:1], v[2:3] offset0:14 offset1:15
	ds_write_b64 v20, a[2:3] offset:128
.LBB0_7:
	s_or_b64 exec, exec, s[2:3]
	v_add_u32_e32 v4, 0xd00, v92
	s_load_dwordx2 s[8:9], s[0:1], 0x20
	s_load_dwordx2 s[6:7], s[0:1], 0x8
	s_waitcnt lgkmcnt(0)
	s_barrier
	ds_read2_b64 v[32:35], v4 offset0:26 offset1:247
	v_add_u32_e32 v4, 0x1b00, v92
	ds_read2_b64 v[28:31], v92 offset1:221
	ds_read2_b64 v[36:39], v4 offset0:20 offset1:241
	ds_read_b64 v[40:41], v92 offset:10608
	s_movk_i32 s0, 0x66
	v_cmp_gt_u16_e64 s[2:3], s0, v93
	s_movk_i32 s0, 0x65
	v_cmp_lt_u16_e32 vcc, s0, v93
	s_and_saveexec_b64 s[0:1], vcc
	s_xor_b64 s[0:1], exec, s[0:1]
	s_or_saveexec_b64 s[0:1], s[0:1]
	v_accvgpr_read_b32 v177, a3
	v_accvgpr_read_b32 v176, a2
	s_xor_b64 exec, exec, s[0:1]
	s_cbranch_execz .LBB0_9
; %bb.8:
	v_add_u32_e32 v4, 0x300, v92
	v_add_u32_e32 v8, 0x1100, v92
	;; [unrolled: 1-line block ×3, first 2 shown]
	ds_read2_b64 v[4:7], v4 offset0:23 offset1:244
	ds_read2_b64 v[8:11], v8 offset0:17 offset1:238
	;; [unrolled: 1-line block ×3, first 2 shown]
	ds_read_b64 v[16:17], v92 offset:11560
	s_waitcnt lgkmcnt(3)
	v_mov_b32_e32 v116, v6
	s_waitcnt lgkmcnt(2)
	v_mov_b32_e32 v117, v11
	v_mov_b32_e32 v118, v7
	;; [unrolled: 1-line block ×3, first 2 shown]
	s_waitcnt lgkmcnt(0)
	v_mov_b32_e32 v100, v16
	v_mov_b32_e32 v101, v13
	;; [unrolled: 1-line block ×4, first 2 shown]
	v_mov_b64_e32 v[74:75], v[4:5]
	v_mov_b64_e32 v[48:49], v[14:15]
	;; [unrolled: 1-line block ×3, first 2 shown]
.LBB0_9:
	s_or_b64 exec, exec, s[0:1]
	s_movk_i32 s0, 0xf1
	v_mul_lo_u16_sdwa v4, v93, s0 dst_sel:DWORD dst_unused:UNUSED_PAD src0_sel:BYTE_0 src1_sel:DWORD
	v_lshrrev_b16_e32 v82, 12, v4
	v_mul_lo_u16_e32 v4, 17, v82
	v_sub_u16_e32 v4, v93, v4
	v_and_b32_e32 v88, 0xff, v4
	v_mul_u32_u24_e32 v4, 6, v88
	v_lshlrev_b32_e32 v42, 3, v4
	v_add_u16_e32 v4, 0x77, v93
	v_mul_lo_u16_sdwa v5, v4, s0 dst_sel:DWORD dst_unused:UNUSED_PAD src0_sel:BYTE_0 src1_sel:DWORD
	v_lshrrev_b16_e32 v180, 12, v5
	v_mul_lo_u16_e32 v5, 17, v180
	v_sub_u16_e32 v4, v4, v5
	v_and_b32_e32 v181, 0xff, v4
	v_mul_u32_u24_e32 v4, 6, v181
	global_load_dwordx4 v[20:23], v42, s[6:7] offset:16
	global_load_dwordx4 v[16:19], v42, s[6:7]
	v_lshlrev_b32_e32 v43, 3, v4
	global_load_dwordx4 v[24:27], v42, s[6:7] offset:32
	global_load_dwordx4 v[4:7], v43, s[6:7]
	global_load_dwordx4 v[8:11], v43, s[6:7] offset:32
	global_load_dwordx4 v[12:15], v43, s[6:7] offset:16
	v_mov_b32_e32 v46, v117
	v_mov_b32_e32 v47, v120
	v_mov_b32_e32 v54, v101
	v_mov_b32_e32 v55, v48
	v_mov_b32_e32 v42, v119
	v_mov_b32_e32 v44, v119
	v_mov_b32_e32 v45, v121
	v_mov_b32_e32 v50, v103
	v_mov_b32_e32 v52, v103
	v_mov_b32_e32 v53, v49
	s_mov_b32 s18, 0x3eae86e6
	s_mov_b32 s22, 0x3d64c772
	;; [unrolled: 1-line block ×10, first 2 shown]
	s_load_dwordx4 s[8:11], s[8:9], 0x0
	s_waitcnt lgkmcnt(0)
	s_barrier
	s_waitcnt vmcnt(5)
	v_mul_f32_e32 v81, v37, v22
	s_waitcnt vmcnt(2)
	v_pk_mul_f32 v[58:59], v[120:121], v[6:7]
	v_mov_b32_e32 v56, v5
	s_waitcnt vmcnt(1)
	v_pk_mul_f32 v[60:61], v[48:49], v[8:9]
	v_mov_b32_e32 v58, v11
	v_mov_b32_e32 v64, v5
	s_waitcnt vmcnt(0)
	v_mov_b32_e32 v65, v13
	v_mov_b32_e32 v68, v13
	;; [unrolled: 1-line block ×5, first 2 shown]
	v_mul_f32_e32 v43, v33, v19
	v_mul_f32_e32 v51, v39, v25
	v_mov_b32_e32 v62, v4
	v_mov_b32_e32 v63, v12
	;; [unrolled: 1-line block ×6, first 2 shown]
	v_pk_mul_f32 v[56:57], v[116:117], v[56:57]
	v_mov_b32_e32 v60, v59
	v_mov_b32_e32 v80, v61
	v_pk_mul_f32 v[58:59], v[100:101], v[58:59]
	v_pk_mul_f32 v[64:65], v[118:119], v[64:65]
	;; [unrolled: 1-line block ×4, first 2 shown]
	v_mov_b32_e32 v86, v11
	v_mov_b32_e32 v87, v15
	v_fma_f32 v78, v38, v24, -v51
	v_pk_fma_f32 v[56:57], v[118:119], v[4:5], v[56:57]
	v_pk_fma_f32 v[60:61], v[120:121], v[6:7], v[60:61] neg_lo:[0,0,1] neg_hi:[0,0,1]
	v_pk_fma_f32 v[48:49], v[48:49], v[8:9], v[80:81] neg_lo:[0,0,1] neg_hi:[0,0,1]
	v_pk_fma_f32 v[58:59], v[102:103], v[10:11], v[58:59]
	v_pk_fma_f32 v[72:73], v[116:117], v[62:63], v[64:65] neg_lo:[0,0,1] neg_hi:[0,0,1]
	v_pk_fma_f32 v[62:63], v[116:117], v[62:63], v[64:65]
	;; [unrolled: 2-line block ×4, first 2 shown]
	v_mov_b32_e32 v84, v10
	v_mov_b32_e32 v85, v14
	v_fma_f32 v76, v32, v18, -v43
	v_pk_mul_f32 v[68:69], v[102:103], v[86:87]
	v_pk_add_f32 v[42:43], v[56:57], v[58:59]
	v_mov_b32_e32 v65, v47
	v_mov_b32_e32 v67, v51
	v_mov_b32_e32 v52, v47
	v_mov_b32_e32 v53, v60
	v_mov_b32_e32 v50, v51
	v_mov_b32_e32 v51, v48
	v_pk_fma_f32 v[54:55], v[100:101], v[84:85], v[68:69] neg_lo:[0,0,1] neg_hi:[0,0,1]
	v_pk_fma_f32 v[68:69], v[100:101], v[84:85], v[68:69]
	v_pk_add_f32 v[44:45], v[60:61], v[48:49]
	v_pk_add_f32 v[48:49], v[52:53], v[50:51] neg_lo:[0,1] neg_hi:[0,1]
	v_pk_add_f32 v[52:53], v[64:65], v[66:67]
	v_mov_b32_e32 v43, v42
	v_pk_mul_f32 v[84:85], v[30:31], v[16:17] op_sel_hi:[1,0]
	v_mul_f32_e32 v83, v36, v23
	v_pk_add_f32 v[60:61], v[52:53], v[42:43]
	v_mul_u32_u24_e32 v43, 0x77, v82
	v_pk_fma_f32 v[86:87], v[30:31], v[16:17], v[84:85] op_sel:[0,1,1] op_sel_hi:[1,1,0]
	v_pk_fma_f32 v[30:31], v[30:31], v[16:17], v[84:85] op_sel:[0,1,1] op_sel_hi:[1,1,0] neg_lo:[1,0,0] neg_hi:[1,0,0]
	v_mov_b32_e32 v84, v33
	v_mov_b32_e32 v85, v36
	;; [unrolled: 1-line block ×9, first 2 shown]
	v_add_lshl_u32 v43, v43, v88, 3
	v_mov_b32_e32 v88, v18
	v_mov_b32_e32 v89, v22
	v_pk_mul_f32 v[32:33], v[32:33], v[36:37]
	v_mul_f32_e32 v77, v35, v20
	v_mul_f32_e32 v79, v34, v21
	v_pk_add_f32 v[46:47], v[56:57], v[58:59] neg_lo:[0,1] neg_hi:[0,1]
	v_pk_add_f32 v[50:51], v[72:73], v[54:55]
	v_mov_b32_e32 v54, v69
	v_mov_b32_e32 v55, v66
	;; [unrolled: 1-line block ×4, first 2 shown]
	v_pk_fma_f32 v[36:37], v[84:85], v[18:19], v[32:33]
	v_pk_fma_f32 v[32:33], v[84:85], v[88:89], v[32:33] neg_lo:[0,0,1] neg_hi:[0,0,1]
	v_mov_b32_e32 v84, v39
	v_mov_b32_e32 v85, v34
	;; [unrolled: 1-line block ×5, first 2 shown]
	v_pk_add_f32 v[54:55], v[54:55], v[56:57] neg_lo:[0,1] neg_hi:[0,1]
	v_mov_b32_e32 v88, v24
	v_mov_b32_e32 v89, v20
	v_pk_mul_f32 v[34:35], v[38:39], v[34:35]
	v_pk_add_f32 v[56:57], v[44:45], v[50:51]
	v_mov_b32_e32 v64, v54
	v_mov_b32_e32 v65, v47
	;; [unrolled: 1-line block ×4, first 2 shown]
	v_pk_fma_f32 v[38:39], v[84:85], v[24:25], v[34:35]
	v_pk_fma_f32 v[34:35], v[84:85], v[88:89], v[34:35] neg_lo:[0,0,1] neg_hi:[0,0,1]
	v_pk_mul_f32 v[84:85], v[40:41], v[26:27] op_sel_hi:[1,0]
	v_mov_b32_e32 v30, v27
	v_pk_add_f32 v[66:67], v[54:55], v[48:49]
	v_pk_add_f32 v[70:71], v[64:65], v[68:69] neg_lo:[0,1] neg_hi:[0,1]
	v_mov_b32_e32 v64, v46
	v_mov_b32_e32 v65, v55
	;; [unrolled: 1-line block ×5, first 2 shown]
	v_pk_fma_f32 v[88:89], v[40:41], v[30:31], v[84:85] op_sel:[0,0,1] op_sel_hi:[1,0,0]
	v_pk_fma_f32 v[40:41], v[40:41], v[30:31], v[84:85] op_sel:[0,0,1] op_sel_hi:[1,0,0] neg_lo:[1,0,0] neg_hi:[1,0,0]
	v_pk_add_f32 v[64:65], v[64:65], v[54:55] neg_lo:[0,1] neg_hi:[0,1]
	v_pk_add_f32 v[54:55], v[56:57], v[60:61]
	v_mov_b32_e32 v87, v31
	v_mov_b32_e32 v37, v33
	;; [unrolled: 1-line block ×6, first 2 shown]
	v_pk_add_f32 v[68:69], v[66:67], v[46:47]
	v_pk_add_f32 v[66:67], v[74:75], v[54:55]
	;; [unrolled: 1-line block ×4, first 2 shown]
	v_pk_add_f32 v[86:87], v[86:87], v[88:89] neg_lo:[0,1] neg_hi:[0,1]
	v_pk_add_f32 v[88:89], v[36:37], v[38:39]
	v_pk_add_f32 v[30:31], v[80:81], v[82:83]
	v_pk_add_f32 v[36:37], v[36:37], v[38:39] neg_lo:[0,1] neg_hi:[0,1]
	v_mov_b32_e32 v38, v31
	v_mov_b32_e32 v39, v76
	v_mov_b32_e32 v40, v75
	v_mov_b32_e32 v41, v78
	v_mov_b32_e32 v34, v35
	v_mov_b32_e32 v35, v88
	v_mov_b32_e32 v32, v33
	v_mov_b32_e32 v33, v84
	v_pk_add_f32 v[38:39], v[38:39], v[40:41] neg_lo:[0,1] neg_hi:[0,1]
	v_pk_add_f32 v[82:83], v[74:75], v[30:31]
	v_pk_add_f32 v[32:33], v[34:35], v[32:33]
	v_mov_b32_e32 v78, v38
	v_mov_b32_e32 v79, v87
	;; [unrolled: 1-line block ×7, first 2 shown]
	v_pk_add_f32 v[78:79], v[78:79], v[36:37] neg_lo:[0,1] neg_hi:[0,1]
	v_pk_add_f32 v[34:35], v[34:35], v[74:75] neg_lo:[0,1] neg_hi:[0,1]
	v_mov_b32_e32 v31, v83
	v_mov_b32_e32 v90, v32
	v_mov_b32_e32 v91, v88
	v_pk_add_f32 v[32:33], v[82:83], v[32:33]
	v_pk_add_f32 v[40:41], v[40:41], v[38:39] neg_lo:[0,1] neg_hi:[0,1]
	v_pk_mul_f32 v[78:79], v[78:79], s[24:25]
	v_pk_add_f32 v[80:81], v[36:37], v[38:39]
	v_pk_add_f32 v[90:91], v[30:31], v[90:91] neg_lo:[0,1] neg_hi:[0,1]
	v_pk_add_f32 v[28:29], v[28:29], v[32:33]
	v_pk_mul_f32 v[34:35], v[34:35], s[22:23]
	v_pk_mul_f32 v[76:77], v[40:41], s[18:19]
	v_pk_add_f32 v[80:81], v[80:81], v[86:87]
	v_pk_mul_f32 v[82:83], v[90:91], s[0:1]
	v_pk_fma_f32 v[32:33], v[32:33], s[20:21], v[28:29] op_sel_hi:[1,0,1] neg_lo:[1,0,0] neg_hi:[1,0,0]
	v_pk_fma_f32 v[90:91], v[90:91], s[0:1], v[34:35]
	v_pk_fma_f32 v[40:41], v[40:41], s[18:19], v[78:79]
	v_pk_add_f32 v[90:91], v[90:91], v[32:33]
	v_pk_fma_f32 v[40:41], v[80:81], s[16:17], v[40:41] op_sel_hi:[1,0,1]
	v_mov_b32_e32 v58, v52
	v_mov_b32_e32 v59, v42
	;; [unrolled: 1-line block ×3, first 2 shown]
	v_pk_add_f32 v[94:95], v[90:91], v[40:41]
	v_pk_add_f32 v[40:41], v[90:91], v[40:41] neg_lo:[0,1] neg_hi:[0,1]
	v_pk_add_f32 v[62:63], v[58:59], v[44:45] neg_lo:[0,1] neg_hi:[0,1]
	v_mov_b32_e32 v90, v94
	v_mov_b32_e32 v91, v41
	;; [unrolled: 1-line block ×5, first 2 shown]
	v_pk_add_f32 v[58:59], v[50:51], v[52:53] neg_lo:[0,1] neg_hi:[0,1]
	v_pk_mul_f32 v[56:57], v[62:63], s[22:23]
	v_pk_mul_f32 v[62:63], v[70:71], s[24:25]
	v_pk_fma_f32 v[60:61], v[54:55], s[20:21], v[66:67] op_sel_hi:[1,0,1] neg_lo:[1,0,0] neg_hi:[1,0,0]
	ds_write2_b64 v43, v[28:29], v[90:91] offset1:17
	v_pk_add_f32 v[28:29], v[36:37], v[86:87] neg_lo:[0,1] neg_hi:[0,1]
	s_mov_b32 s20, 0x3f5ff5aa
	v_pk_add_f32 v[30:31], v[74:75], v[30:31] neg_lo:[0,1] neg_hi:[0,1]
	s_mov_b32 s22, 0x3f3bfb3b
	v_mov_b32_e32 v36, v82
	v_mov_b32_e32 v37, v35
	;; [unrolled: 1-line block ×6, first 2 shown]
	v_pk_fma_f32 v[54:55], v[58:59], s[0:1], v[56:57]
	v_pk_fma_f32 v[70:71], v[64:65], s[18:19], v[62:63]
	v_pk_fma_f32 v[36:37], v[30:31], s[22:23], v[36:37] op_sel_hi:[1,0,1] neg_lo:[1,0,1] neg_hi:[1,0,1]
	v_pk_fma_f32 v[38:39], v[28:29], s[20:21], v[38:39] op_sel_hi:[1,0,1] neg_lo:[1,0,1] neg_hi:[1,0,1]
	;; [unrolled: 1-line block ×4, first 2 shown]
	v_pk_add_f32 v[54:55], v[54:55], v[60:61]
	v_pk_fma_f32 v[72:73], v[68:69], s[16:17], v[70:71] op_sel_hi:[1,0,1]
	v_pk_add_f32 v[36:37], v[36:37], v[32:33]
	v_pk_fma_f32 v[38:39], v[80:81], s[16:17], v[38:39] op_sel_hi:[1,0,1]
	;; [unrolled: 2-line block ×3, first 2 shown]
	v_pk_add_f32 v[70:71], v[54:55], v[72:73] neg_lo:[0,1] neg_hi:[0,1]
	v_pk_add_f32 v[72:73], v[54:55], v[72:73]
	v_pk_add_f32 v[74:75], v[36:37], v[38:39]
	v_pk_add_f32 v[36:37], v[36:37], v[38:39] neg_lo:[0,1] neg_hi:[0,1]
	v_pk_add_f32 v[32:33], v[30:31], v[28:29] neg_lo:[0,1] neg_hi:[0,1]
	v_pk_add_f32 v[28:29], v[30:31], v[28:29]
	v_mov_b32_e32 v54, v70
	v_mov_b32_e32 v55, v73
	;; [unrolled: 1-line block ×9, first 2 shown]
	v_accvgpr_write_b32 a2, v43
	ds_write2_b64 v43, v[38:39], v[30:31] offset0:34 offset1:51
	ds_write2_b64 v43, v[28:29], v[36:37] offset0:68 offset1:85
	ds_write_b64 v43, v[40:41] offset:816
	s_and_saveexec_b64 s[24:25], s[2:3]
	s_cbranch_execz .LBB0_11
; %bb.10:
	v_pk_mul_f32 v[28:29], v[58:59], s[0:1]
	v_pk_mul_f32 v[32:33], v[64:65], s[18:19]
	v_mul_u32_u24_e32 v34, 0x77, v180
	v_mov_b32_e32 v45, v53
	v_mov_b32_e32 v51, v42
	v_add_lshl_u32 v52, v34, v181, 3
	v_mov_b32_e32 v34, v28
	v_mov_b32_e32 v35, v57
	v_pk_add_f32 v[36:37], v[44:45], v[50:51] neg_lo:[0,1] neg_hi:[0,1]
	v_pk_add_f32 v[38:39], v[48:49], v[46:47] neg_lo:[0,1] neg_hi:[0,1]
	v_mov_b32_e32 v40, v32
	v_mov_b32_e32 v41, v63
	;; [unrolled: 1-line block ×4, first 2 shown]
	v_pk_mul_f32 v[30:31], v[68:69], s[16:17] op_sel_hi:[1,0]
	v_pk_fma_f32 v[34:35], v[36:37], s[22:23], v[34:35] op_sel_hi:[1,0,1] neg_lo:[1,0,1] neg_hi:[1,0,1]
	v_pk_fma_f32 v[40:41], v[38:39], s[20:21], v[40:41] op_sel_hi:[1,0,1] neg_lo:[1,0,1] neg_hi:[1,0,1]
	;; [unrolled: 1-line block ×4, first 2 shown]
	v_pk_add_f32 v[34:35], v[34:35], v[60:61]
	v_pk_add_f32 v[40:41], v[30:31], v[40:41]
	;; [unrolled: 1-line block ×5, first 2 shown]
	v_pk_add_f32 v[34:35], v[34:35], v[40:41] neg_lo:[0,1] neg_hi:[0,1]
	v_pk_add_f32 v[32:33], v[28:29], v[30:31] neg_lo:[0,1] neg_hi:[0,1]
	v_pk_add_f32 v[28:29], v[28:29], v[30:31]
	v_mov_b32_e32 v73, v71
	v_mov_b32_e32 v40, v42
	;; [unrolled: 1-line block ×7, first 2 shown]
	ds_write2_b64 v52, v[66:67], v[72:73] offset1:17
	ds_write2_b64 v52, v[40:41], v[30:31] offset0:34 offset1:51
	ds_write2_b64 v52, v[28:29], v[34:35] offset0:68 offset1:85
	ds_write_b64 v52, v[54:55] offset:816
.LBB0_11:
	s_or_b64 exec, exec, s[24:25]
	s_movk_i32 s0, 0x60
	v_mov_b64_e32 v[28:29], s[6:7]
	v_mad_u64_u32 v[48:49], s[0:1], v93, s0, v[28:29]
	s_waitcnt lgkmcnt(0)
	s_barrier
	global_load_dwordx4 v[28:31], v[48:49], off offset:832
	global_load_dwordx4 v[44:47], v[48:49], off offset:848
	;; [unrolled: 1-line block ×5, first 2 shown]
	v_add_u32_e32 v97, 0x800, v92
	ds_read_b64 v[60:61], v92
	v_add_u32_e32 v98, 0x1000, v92
	v_add_u32_e32 v99, 0x1800, v92
	;; [unrolled: 1-line block ×4, first 2 shown]
	ds_read2_b64 v[56:59], v97 offset0:101 offset1:220
	ds_read2_b64 v[62:65], v98 offset0:83 offset1:202
	;; [unrolled: 1-line block ×5, first 2 shown]
	global_load_dwordx4 v[48:51], v[48:49], off offset:816
	s_mov_b32 s22, 0x3eedf032
	s_mov_b32 s23, 0x3f62ad3f
	;; [unrolled: 1-line block ×29, first 2 shown]
	s_waitcnt vmcnt(5)
	v_mov_b32_e32 v52, v31
	s_waitcnt vmcnt(4) lgkmcnt(3)
	v_pk_mul_f32 v[78:79], v[62:63], v[44:45] op_sel:[0,1]
	v_mov_b32_e32 v80, v47
	s_waitcnt vmcnt(3) lgkmcnt(2)
	v_pk_mul_f32 v[82:83], v[66:67], v[40:41] op_sel:[0,1]
	s_waitcnt vmcnt(2) lgkmcnt(1)
	v_pk_mul_f32 v[86:87], v[70:71], v[36:37] op_sel:[0,1]
	v_mov_b32_e32 v88, v39
	s_waitcnt vmcnt(1)
	v_mov_b32_e32 v100, v35
	v_pk_mul_f32 v[52:53], v[58:59], v[52:53] op_sel_hi:[1,0]
	v_pk_fma_f32 v[102:103], v[62:63], v[44:45], v[78:79] op_sel:[0,0,1] op_sel_hi:[1,0,0] neg_lo:[0,0,1] neg_hi:[0,0,1]
	v_pk_fma_f32 v[104:105], v[62:63], v[44:45], v[78:79] op_sel:[0,0,1] op_sel_hi:[1,0,0]
	v_pk_mul_f32 v[62:63], v[64:65], v[80:81] op_sel_hi:[1,0]
	v_pk_fma_f32 v[106:107], v[66:67], v[40:41], v[82:83] op_sel:[0,0,1] op_sel_hi:[1,1,0] neg_lo:[0,0,1] neg_hi:[0,0,1]
	v_pk_fma_f32 v[66:67], v[66:67], v[40:41], v[82:83] op_sel:[0,0,1] op_sel_hi:[1,0,0]
	v_pk_fma_f32 v[80:81], v[70:71], v[36:37], v[86:87] op_sel:[0,0,1] op_sel_hi:[1,0,0] neg_lo:[0,0,1] neg_hi:[0,0,1]
	v_pk_fma_f32 v[70:71], v[70:71], v[36:37], v[86:87] op_sel:[0,0,1] op_sel_hi:[1,0,0]
	v_pk_mul_f32 v[82:83], v[72:73], v[88:89] op_sel_hi:[1,0]
	s_waitcnt lgkmcnt(0)
	v_pk_mul_f32 v[86:87], v[76:77], v[100:101] op_sel_hi:[1,0]
	v_pk_fma_f32 v[88:89], v[58:59], v[30:31], v[52:53] op_sel:[0,0,1] op_sel_hi:[1,0,0] neg_lo:[0,0,1] neg_hi:[0,0,1]
	v_pk_fma_f32 v[52:53], v[58:59], v[30:31], v[52:53] op_sel:[0,0,1] op_sel_hi:[1,0,0]
	v_pk_fma_f32 v[108:109], v[64:65], v[46:47], v[62:63] op_sel:[0,0,1] op_sel_hi:[1,1,0] neg_lo:[0,0,1] neg_hi:[0,0,1]
	v_pk_fma_f32 v[58:59], v[64:65], v[46:47], v[62:63] op_sel:[0,0,1] op_sel_hi:[1,0,0]
	v_mov_b32_e32 v107, v67
	v_mov_b32_e32 v110, v80
	v_pk_fma_f32 v[112:113], v[72:73], v[38:39], v[82:83] op_sel:[0,0,1] op_sel_hi:[1,1,0] neg_lo:[0,0,1] neg_hi:[0,0,1]
	v_pk_fma_f32 v[62:63], v[72:73], v[38:39], v[82:83] op_sel:[0,0,1] op_sel_hi:[1,0,0]
	v_pk_fma_f32 v[114:115], v[76:77], v[34:35], v[86:87] op_sel:[0,0,1] op_sel_hi:[1,1,0] neg_lo:[0,0,1] neg_hi:[0,0,1]
	v_pk_fma_f32 v[66:67], v[76:77], v[34:35], v[86:87] op_sel:[0,0,1] op_sel_hi:[1,0,0]
	v_mov_b32_e32 v109, v59
	v_pk_add_f32 v[76:77], v[88:89], v[80:81]
	v_pk_add_f32 v[58:59], v[88:89], v[80:81] neg_lo:[0,1] neg_hi:[0,1]
	ds_read2_b64 v[80:83], v92 offset0:119 offset1:238
	v_mov_b32_e32 v86, v88
	v_mov_b32_e32 v87, v53
	v_mov_b32_e32 v84, v43
	v_mov_b32_e32 v100, v102
	s_waitcnt vmcnt(0) lgkmcnt(0)
	v_pk_mul_f32 v[88:89], v[80:81], v[48:49] op_sel:[0,1]
	v_mov_b32_e32 v101, v105
	v_pk_fma_f32 v[134:135], v[80:81], v[48:49], v[88:89] op_sel:[0,0,1] op_sel_hi:[1,1,0] neg_lo:[0,0,1] neg_hi:[0,0,1]
	v_pk_fma_f32 v[80:81], v[80:81], v[48:49], v[88:89] op_sel:[0,0,1] op_sel_hi:[1,0,0]
	v_pk_mul_f32 v[90:91], v[74:75], v[32:33] op_sel:[0,1]
	v_mov_b32_e32 v80, v51
	v_mov_b32_e32 v135, v81
	v_pk_mul_f32 v[80:81], v[82:83], v[80:81] op_sel_hi:[1,0]
	v_pk_mul_f32 v[78:79], v[68:69], v[84:85] op_sel_hi:[1,0]
	v_pk_fma_f32 v[88:89], v[82:83], v[50:51], v[80:81] op_sel:[0,0,1] op_sel_hi:[1,1,0] neg_lo:[0,0,1] neg_hi:[0,0,1]
	v_pk_fma_f32 v[80:81], v[82:83], v[50:51], v[80:81] op_sel:[0,0,1] op_sel_hi:[1,0,0]
	v_pk_fma_f32 v[84:85], v[74:75], v[32:33], v[90:91] op_sel:[0,0,1] op_sel_hi:[1,1,0] neg_lo:[0,0,1] neg_hi:[0,0,1]
	v_mov_b32_e32 v89, v81
	v_pk_mul_f32 v[80:81], v[56:57], v[28:29] op_sel:[0,1]
	v_pk_fma_f32 v[74:75], v[74:75], v[32:33], v[90:91] op_sel:[0,0,1] op_sel_hi:[1,0,0]
	v_pk_fma_f32 v[82:83], v[56:57], v[28:29], v[80:81] op_sel:[0,0,1] op_sel_hi:[1,1,0] neg_lo:[0,0,1] neg_hi:[0,0,1]
	v_pk_fma_f32 v[56:57], v[56:57], v[28:29], v[80:81] op_sel:[0,0,1] op_sel_hi:[1,0,0]
	v_pk_fma_f32 v[64:65], v[68:69], v[42:43], v[78:79] op_sel:[0,0,1] op_sel_hi:[1,0,0] neg_lo:[0,0,1] neg_hi:[0,0,1]
	v_mov_b32_e32 v83, v57
	v_pk_add_f32 v[56:57], v[60:61], v[134:135]
	v_pk_fma_f32 v[68:69], v[68:69], v[42:43], v[78:79] op_sel:[0,0,1] op_sel_hi:[1,0,0]
	v_pk_add_f32 v[56:57], v[56:57], v[88:89]
	v_mov_b32_e32 v115, v67
	v_pk_add_f32 v[56:57], v[56:57], v[82:83]
	v_mov_b32_e32 v85, v75
	;; [unrolled: 2-line block ×4, first 2 shown]
	v_pk_add_f32 v[56:57], v[56:57], v[108:109]
	v_pk_add_f32 v[80:81], v[134:135], v[114:115]
	v_pk_add_f32 v[134:135], v[134:135], v[114:115] neg_lo:[0,1] neg_hi:[0,1]
	v_pk_add_f32 v[56:57], v[56:57], v[106:107]
	v_mov_b32_e32 v111, v71
	v_mov_b32_e32 v113, v63
	v_pk_mul_f32 v[136:137], v[134:135], s[26:27] op_sel_hi:[1,0]
	v_pk_add_f32 v[144:145], v[88:89], v[84:85] neg_lo:[0,1] neg_hi:[0,1]
	v_pk_add_f32 v[56:57], v[56:57], v[116:117]
	v_pk_fma_f32 v[138:139], v[80:81], s[34:35], v[136:137] op_sel:[0,0,1] op_sel_hi:[1,0,0]
	v_pk_fma_f32 v[136:137], v[80:81], s[34:35], v[136:137] op_sel:[0,0,1] op_sel_hi:[1,0,0] neg_lo:[0,0,1] neg_hi:[0,0,1]
	v_pk_add_f32 v[142:143], v[88:89], v[84:85]
	v_pk_mul_f32 v[146:147], v[144:145], s[42:43] op_sel_hi:[1,0]
	v_pk_add_f32 v[154:155], v[82:83], v[112:113] neg_lo:[0,1] neg_hi:[0,1]
	v_pk_add_f32 v[56:57], v[56:57], v[110:111]
	v_mov_b32_e32 v140, v138
	v_mov_b32_e32 v141, v137
	v_pk_fma_f32 v[148:149], v[142:143], s[28:29], v[146:147] op_sel:[0,0,1] op_sel_hi:[1,0,0] neg_lo:[0,0,1] neg_hi:[0,0,1]
	v_pk_fma_f32 v[146:147], v[142:143], s[28:29], v[146:147] op_sel:[0,0,1] op_sel_hi:[1,0,0]
	v_pk_add_f32 v[152:153], v[82:83], v[112:113]
	s_mov_b32 s26, 0x3df6dbef
	v_pk_mul_f32 v[156:157], v[154:155], s[30:31] op_sel_hi:[1,0]
	v_pk_add_f32 v[56:57], v[56:57], v[112:113]
	v_mov_b32_e32 v150, v146
	v_mov_b32_e32 v151, v149
	v_pk_fma_f32 v[158:159], v[152:153], s[26:27], v[156:157] op_sel:[0,0,1] op_sel_hi:[1,0,0] neg_lo:[0,0,1] neg_hi:[0,0,1]
	v_pk_fma_f32 v[156:157], v[152:153], s[26:27], v[156:157] op_sel:[0,0,1] op_sel_hi:[1,0,0]
	v_pk_add_f32 v[56:57], v[56:57], v[84:85]
	v_mov_b32_e32 v137, v139
	v_pk_add_f32 v[84:85], v[60:61], v[140:141]
	v_mov_b32_e32 v160, v156
	v_mov_b32_e32 v161, v159
	v_pk_add_f32 v[82:83], v[60:61], v[136:137]
	v_mov_b32_e32 v149, v147
	v_pk_add_f32 v[88:89], v[150:151], v[84:85]
	v_pk_add_f32 v[86:87], v[148:149], v[82:83]
	v_mov_b32_e32 v84, v142
	v_mov_b32_e32 v85, v144
	v_pk_add_f32 v[112:113], v[160:161], v[88:89]
	v_mov_b32_e32 v88, v152
	v_mov_b32_e32 v89, v154
	v_pk_mul_f32 v[148:149], v[134:135], s[30:31] op_sel_hi:[1,0]
	v_pk_add_f32 v[78:79], v[52:53], v[70:71] neg_lo:[0,1] neg_hi:[0,1]
	v_pk_add_f32 v[74:75], v[52:53], v[70:71]
	v_mov_b32_e32 v77, v58
	v_pk_add_f32 v[56:57], v[56:57], v[114:115]
	v_mov_b32_e32 v82, v145
	v_mov_b32_e32 v83, v143
	v_pk_mul_f32 v[100:101], v[84:85], s[38:39]
	v_pk_mul_f32 v[114:115], v[88:89], s[38:39]
	s_mov_b32 s38, 0x3f6f5d39
	v_pk_fma_f32 v[150:151], v[80:81], s[26:27], v[148:149] op_sel:[0,0,1] op_sel_hi:[1,0,0] neg_lo:[0,0,1] neg_hi:[0,0,1]
	v_pk_fma_f32 v[148:149], v[80:81], s[26:27], v[148:149] op_sel:[0,0,1] op_sel_hi:[1,0,0]
	v_pk_add_f32 v[72:73], v[108:109], v[106:107]
	v_pk_add_f32 v[62:63], v[108:109], v[106:107] neg_lo:[0,1] neg_hi:[0,1]
	v_mov_b32_e32 v74, v79
	v_pk_mul_f32 v[118:119], v[76:77], s[18:19]
	v_pk_fma_f32 v[106:107], v[82:83], s[40:41], v[100:101] neg_lo:[1,0,0] neg_hi:[1,0,0]
	v_pk_fma_f32 v[108:109], v[82:83], s[40:41], v[100:101]
	v_mov_b32_e32 v159, v157
	s_mov_b32 s45, s38
	v_mov_b32_e32 v156, v148
	v_mov_b32_e32 v157, v151
	;; [unrolled: 1-line block ×3, first 2 shown]
	v_pk_fma_f32 v[100:101], v[82:83], s[40:41], v[100:101] neg_lo:[0,0,1] neg_hi:[0,0,1]
	v_pk_fma_f32 v[120:121], v[78:79], s[0:1], v[118:119] op_sel:[1,0,0] neg_lo:[1,0,0] neg_hi:[1,0,0]
	v_pk_fma_f32 v[122:123], v[74:75], s[0:1], v[118:119]
	v_mov_b32_e32 v107, v109
	v_pk_add_f32 v[110:111], v[158:159], v[86:87]
	v_mov_b32_e32 v86, v155
	v_mov_b32_e32 v87, v153
	s_mov_b32 s39, s1
	v_pk_mul_f32 v[138:139], v[88:89], s[44:45]
	v_pk_add_f32 v[148:149], v[60:61], v[150:151]
	v_pk_add_f32 v[150:151], v[60:61], v[156:157]
	v_mov_b32_e32 v109, v101
	v_mov_b32_e32 v121, v123
	v_pk_fma_f32 v[140:141], v[86:87], s[38:39], v[138:139] neg_lo:[1,0,0] neg_hi:[1,0,0]
	v_pk_fma_f32 v[146:147], v[86:87], s[38:39], v[138:139]
	v_pk_add_f32 v[100:101], v[108:109], v[150:151]
	v_pk_fma_f32 v[108:109], v[86:87], s[38:39], v[138:139] neg_lo:[0,0,1] neg_hi:[0,0,1]
	v_mov_b32_e32 v141, v147
	v_mov_b32_e32 v147, v109
	v_pk_add_f32 v[108:109], v[120:121], v[110:111]
	v_pk_fma_f32 v[110:111], v[74:75], s[0:1], v[118:119] neg_lo:[0,0,1] neg_hi:[0,0,1]
	v_pk_mul_f32 v[124:125], v[76:77], s[6:7]
	v_mov_b32_e32 v123, v111
	v_pk_fma_f32 v[126:127], v[78:79], s[16:17], v[124:125] op_sel:[1,0,0] neg_lo:[1,0,0] neg_hi:[1,0,0]
	v_pk_fma_f32 v[128:129], v[74:75], s[16:17], v[124:125]
	v_pk_add_f32 v[110:111], v[122:123], v[112:113]
	v_pk_fma_f32 v[112:113], v[74:75], s[16:17], v[124:125] neg_lo:[0,0,1] neg_hi:[0,0,1]
	v_mov_b32_e32 v127, v129
	v_mov_b32_e32 v129, v113
	v_pk_mul_f32 v[112:113], v[134:135], s[42:43] op_sel_hi:[1,0]
	v_pk_mul_f32 v[52:53], v[76:77], s[24:25]
	v_pk_fma_f32 v[118:119], v[80:81], s[28:29], v[112:113] op_sel:[0,0,1] op_sel_hi:[1,0,0] neg_lo:[0,0,1] neg_hi:[0,0,1]
	v_pk_fma_f32 v[112:113], v[80:81], s[28:29], v[112:113] op_sel:[0,0,1] op_sel_hi:[1,0,0]
	s_mov_b32 s38, s1
	v_pk_mul_f32 v[122:123], v[144:145], s[0:1] op_sel_hi:[1,0]
	v_pk_fma_f32 v[130:131], v[78:79], s[22:23], v[52:53] op_sel:[1,0,0] neg_lo:[1,0,0] neg_hi:[1,0,0]
	v_pk_fma_f32 v[70:71], v[74:75], s[22:23], v[52:53]
	v_pk_fma_f32 v[90:91], v[74:75], s[22:23], v[52:53] neg_lo:[0,0,1] neg_hi:[0,0,1]
	v_pk_add_f32 v[52:53], v[102:103], v[64:65]
	v_pk_add_f32 v[58:59], v[102:103], v[64:65] neg_lo:[0,1] neg_hi:[0,1]
	v_mov_b32_e32 v120, v112
	v_mov_b32_e32 v121, v119
	v_pk_fma_f32 v[124:125], v[142:143], s[38:39], v[122:123] op_sel:[0,0,1] op_sel_hi:[1,0,0] neg_lo:[0,0,1] neg_hi:[0,0,1]
	v_pk_fma_f32 v[122:123], v[142:143], s[38:39], v[122:123] op_sel:[0,0,1] op_sel_hi:[1,0,0]
	v_mov_b32_e32 v119, v113
	v_mov_b32_e32 v53, v58
	v_pk_add_f32 v[64:65], v[104:105], v[68:69] neg_lo:[0,1] neg_hi:[0,1]
	v_pk_add_f32 v[68:69], v[104:105], v[68:69]
	v_pk_fma_f32 v[116:117], v[86:87], s[40:41], v[114:115] neg_lo:[1,0,0] neg_hi:[1,0,0]
	v_pk_fma_f32 v[136:137], v[86:87], s[40:41], v[114:115]
	v_mov_b32_e32 v138, v122
	v_mov_b32_e32 v139, v125
	v_pk_add_f32 v[112:113], v[60:61], v[118:119]
	v_pk_add_f32 v[118:119], v[60:61], v[120:121]
	v_pk_fma_f32 v[114:115], v[86:87], s[40:41], v[114:115] neg_lo:[0,0,1] neg_hi:[0,0,1]
	v_pk_mul_f32 v[66:67], v[62:63], s[20:21] op_sel:[1,0] op_sel_hi:[0,0]
	v_mov_b32_e32 v68, v65
	s_mov_b32 s21, s6
	v_pk_mul_f32 v[102:103], v[52:53], s[36:37]
	v_mov_b32_e32 v117, v137
	v_mov_b32_e32 v125, v123
	v_pk_add_f32 v[118:119], v[138:139], v[118:119]
	v_mov_b32_e32 v137, v115
	v_pk_fma_f32 v[104:105], v[64:65], s[20:21], v[102:103] op_sel:[1,0,0] neg_lo:[1,0,0] neg_hi:[1,0,0]
	v_pk_fma_f32 v[132:133], v[68:69], s[20:21], v[102:103]
	v_pk_add_f32 v[106:107], v[106:107], v[148:149]
	v_pk_add_f32 v[112:113], v[124:125], v[112:113]
	;; [unrolled: 1-line block ×3, first 2 shown]
	v_pk_mul_f32 v[122:123], v[134:135], s[40:41] op_sel_hi:[1,0]
	s_mov_b32 s44, 0x3f7e222b
	v_mov_b32_e32 v131, v71
	v_mov_b32_e32 v105, v133
	v_pk_add_f32 v[106:107], v[140:141], v[106:107]
	v_pk_add_f32 v[112:113], v[116:117], v[112:113]
	;; [unrolled: 1-line block ×3, first 2 shown]
	v_pk_fma_f32 v[124:125], v[80:81], s[48:49], v[122:123] op_sel:[0,0,1] op_sel_hi:[1,0,0] neg_lo:[0,0,1] neg_hi:[0,0,1]
	v_pk_fma_f32 v[122:123], v[80:81], s[48:49], v[122:123] op_sel:[0,0,1] op_sel_hi:[1,0,0]
	v_pk_mul_f32 v[128:129], v[144:145], s[22:23] op_sel_hi:[1,0]
	v_pk_fma_f32 v[102:103], v[68:69], s[20:21], v[102:103] neg_lo:[0,0,1] neg_hi:[0,0,1]
	s_mov_b32 s27, s44
	v_pk_add_f32 v[112:113], v[126:127], v[112:113]
	v_pk_add_f32 v[106:107], v[130:131], v[106:107]
	s_mov_b32 s29, s46
	v_mov_b32_e32 v126, v124
	v_mov_b32_e32 v127, v123
	v_pk_fma_f32 v[130:131], v[142:143], s[34:35], v[128:129] op_sel:[0,0,1] op_sel_hi:[1,0,0] neg_lo:[0,0,1] neg_hi:[0,0,1]
	v_pk_fma_f32 v[128:129], v[142:143], s[34:35], v[128:129] op_sel:[0,0,1] op_sel_hi:[1,0,0]
	v_pk_mul_f32 v[138:139], v[154:155], s[20:21] op_sel_hi:[1,0]
	v_pk_add_f32 v[104:105], v[104:105], v[108:109]
	v_mov_b32_e32 v133, v103
	s_mov_b32 s45, s26
	v_pk_mul_f32 v[108:109], v[52:53], s[26:27]
	v_pk_mul_f32 v[116:117], v[76:77], s[28:29]
	v_mov_b32_e32 v136, v130
	v_mov_b32_e32 v137, v129
	v_pk_fma_f32 v[140:141], v[152:153], s[6:7], v[138:139] op_sel:[0,0,1] op_sel_hi:[1,0,0] neg_lo:[0,0,1] neg_hi:[0,0,1]
	v_pk_fma_f32 v[138:139], v[152:153], s[6:7], v[138:139] op_sel:[0,0,1] op_sel_hi:[1,0,0]
	v_pk_add_f32 v[126:127], v[60:61], v[126:127]
	v_mov_b32_e32 v123, v125
	v_pk_add_f32 v[102:103], v[132:133], v[110:111]
	v_pk_fma_f32 v[110:111], v[64:65], s[44:45], v[108:109] op_sel:[1,0,0] neg_lo:[1,0,0] neg_hi:[1,0,0]
	v_pk_fma_f32 v[124:125], v[68:69], s[44:45], v[108:109]
	v_pk_fma_f32 v[118:119], v[78:79], s[46:47], v[116:117] op_sel:[1,0,0] neg_lo:[1,0,0] neg_hi:[1,0,0]
	v_pk_fma_f32 v[120:121], v[74:75], s[46:47], v[116:117]
	v_mov_b32_e32 v142, v140
	v_mov_b32_e32 v143, v139
	v_pk_add_f32 v[126:127], v[136:137], v[126:127]
	v_mov_b32_e32 v111, v125
	s_mov_b32 s29, s42
	v_mov_b32_e32 v119, v121
	v_pk_add_f32 v[126:127], v[142:143], v[126:127]
	v_mov_b32_e32 v129, v131
	v_pk_add_f32 v[122:123], v[60:61], v[122:123]
	v_pk_add_f32 v[110:111], v[110:111], v[112:113]
	s_mov_b32 s43, s28
	v_pk_mul_f32 v[112:113], v[52:53], s[28:29]
	v_pk_add_f32 v[122:123], v[128:129], v[122:123]
	v_pk_add_f32 v[118:119], v[118:119], v[126:127]
	v_pk_fma_f32 v[126:127], v[64:65], s[42:43], v[112:113] op_sel:[1,0,0] neg_lo:[1,0,0] neg_hi:[1,0,0]
	v_pk_fma_f32 v[128:129], v[68:69], s[42:43], v[112:113]
	v_pk_fma_f32 v[116:117], v[74:75], s[46:47], v[116:117] neg_lo:[0,0,1] neg_hi:[0,0,1]
	v_mov_b32_e32 v127, v129
	v_mov_b32_e32 v139, v141
	v_pk_add_f32 v[106:107], v[126:127], v[106:107]
	v_pk_mul_f32 v[126:127], v[52:53], s[18:19]
	v_pk_add_f32 v[122:123], v[138:139], v[122:123]
	v_pk_fma_f32 v[108:109], v[68:69], s[44:45], v[108:109] neg_lo:[0,0,1] neg_hi:[0,0,1]
	v_pk_fma_f32 v[130:131], v[64:65], s[0:1], v[126:127] op_sel:[1,0,0] neg_lo:[1,0,0] neg_hi:[1,0,0]
	v_mov_b32_e32 v121, v117
	v_mov_b32_e32 v64, v65
	;; [unrolled: 1-line block ×3, first 2 shown]
	v_pk_add_f32 v[100:101], v[146:147], v[100:101]
	v_pk_fma_f32 v[112:113], v[68:69], s[42:43], v[112:113] neg_lo:[0,0,1] neg_hi:[0,0,1]
	v_mov_b32_e32 v71, v91
	v_pk_add_f32 v[90:91], v[120:121], v[122:123]
	v_mov_b32_e32 v125, v109
	v_mov_b32_e32 v53, v69
	v_pk_mul_f32 v[58:59], v[64:65], s[50:51] op_sel_hi:[1,0]
	v_mov_b32_e32 v121, v81
	v_mov_b32_e32 v81, v134
	v_pk_add_f32 v[70:71], v[70:71], v[100:101]
	v_pk_add_f32 v[100:101], v[124:125], v[114:115]
	v_mov_b32_e32 v129, v113
	v_pk_fma_f32 v[112:113], v[52:53], s[48:49], v[58:59] op_sel_hi:[1,0,1]
	v_pk_fma_f32 v[114:115], v[52:53], s[48:49], v[58:59] op_sel_hi:[1,0,1] neg_lo:[0,0,1] neg_hi:[0,0,1]
	v_pk_mul_f32 v[58:59], v[64:65], s[22:23] op_sel_hi:[1,0]
	v_mov_b32_e32 v120, v135
	v_pk_mul_f32 v[64:65], v[80:81], s[36:37]
	v_pk_fma_f32 v[132:133], v[68:69], s[0:1], v[126:127]
	v_pk_fma_f32 v[126:127], v[68:69], s[0:1], v[126:127] neg_lo:[0,0,1] neg_hi:[0,0,1]
	v_pk_add_f32 v[108:109], v[128:129], v[70:71]
	v_pk_fma_f32 v[68:69], v[120:121], s[20:21], v[64:65] neg_lo:[1,0,0] neg_hi:[1,0,0]
	v_pk_fma_f32 v[70:71], v[120:121], s[20:21], v[64:65]
	v_pk_mul_f32 v[122:123], v[84:85], s[26:27]
	v_pk_fma_f32 v[64:65], v[120:121], s[20:21], v[64:65] neg_lo:[0,0,1] neg_hi:[0,0,1]
	v_mov_b32_e32 v69, v71
	v_pk_fma_f32 v[124:125], v[82:83], s[44:45], v[122:123] neg_lo:[1,0,0] neg_hi:[1,0,0]
	v_pk_fma_f32 v[128:129], v[82:83], s[44:45], v[122:123]
	v_pk_mul_f32 v[134:135], v[88:89], s[28:29]
	v_mov_b32_e32 v71, v65
	v_pk_fma_f32 v[64:65], v[82:83], s[44:45], v[122:123] neg_lo:[0,0,1] neg_hi:[0,0,1]
	s_mov_b32 s20, s41
	s_mov_b32 s21, s50
	v_mov_b32_e32 v125, v129
	v_pk_fma_f32 v[136:137], v[86:87], s[42:43], v[134:135] neg_lo:[1,0,0] neg_hi:[1,0,0]
	v_pk_fma_f32 v[138:139], v[86:87], s[42:43], v[134:135]
	v_pk_fma_f32 v[134:135], v[86:87], s[42:43], v[134:135] neg_lo:[0,0,1] neg_hi:[0,0,1]
	v_pk_add_f32 v[68:69], v[60:61], v[68:69]
	v_mov_b32_e32 v129, v65
	v_pk_add_f32 v[64:65], v[60:61], v[70:71]
	s_mov_b32 s51, s41
	v_pk_mul_f32 v[70:71], v[76:77], s[20:21]
	v_mov_b32_e32 v137, v139
	v_mov_b32_e32 v139, v135
	v_pk_add_f32 v[68:69], v[124:125], v[68:69]
	v_pk_add_f32 v[64:65], v[128:129], v[64:65]
	v_pk_fma_f32 v[122:123], v[78:79], s[50:51], v[70:71] op_sel:[1,0,0] neg_lo:[1,0,0] neg_hi:[1,0,0]
	v_pk_fma_f32 v[124:125], v[74:75], s[50:51], v[70:71]
	v_pk_fma_f32 v[70:71], v[74:75], s[50:51], v[70:71] neg_lo:[0,0,1] neg_hi:[0,0,1]
	v_mov_b32_e32 v123, v125
	v_pk_add_f32 v[64:65], v[138:139], v[64:65]
	v_mov_b32_e32 v125, v71
	v_pk_fma_f32 v[70:71], v[52:53], s[34:35], v[58:59] op_sel_hi:[1,0,1] neg_lo:[0,0,1] neg_hi:[0,0,1]
	v_pk_fma_f32 v[52:53], v[52:53], s[34:35], v[58:59] op_sel_hi:[1,0,1]
	v_pk_add_f32 v[64:65], v[124:125], v[64:65]
	v_mov_b32_e32 v59, v53
	v_mov_b32_e32 v53, v71
	v_pk_add_f32 v[68:69], v[136:137], v[68:69]
	v_pk_add_f32 v[124:125], v[52:53], v[64:65]
	v_pk_mul_f32 v[52:53], v[62:63], s[40:41] op_sel:[1,0] op_sel_hi:[0,0]
	v_pk_add_f32 v[68:69], v[122:123], v[68:69]
	v_mov_b32_e32 v58, v70
	v_pk_fma_f32 v[64:65], v[72:73], s[48:49], v[52:53] op_sel_hi:[1,0,1] neg_lo:[0,0,1] neg_hi:[0,0,1]
	v_pk_fma_f32 v[52:53], v[72:73], s[48:49], v[52:53] op_sel_hi:[1,0,1]
	v_pk_add_f32 v[122:123], v[58:59], v[68:69]
	v_mov_b32_e32 v58, v64
	v_mov_b32_e32 v59, v53
	;; [unrolled: 1-line block ×3, first 2 shown]
	v_pk_mul_f32 v[64:65], v[62:63], s[22:23] op_sel:[1,0] op_sel_hi:[0,0]
	v_pk_fma_f32 v[68:69], v[72:73], s[34:35], v[64:65] op_sel_hi:[1,0,1] neg_lo:[0,0,1] neg_hi:[0,0,1]
	v_pk_fma_f32 v[70:71], v[72:73], s[34:35], v[64:65] op_sel_hi:[1,0,1]
	v_mov_b32_e32 v64, v68
	v_mov_b32_e32 v65, v71
	;; [unrolled: 1-line block ×3, first 2 shown]
	v_pk_add_f32 v[70:71], v[70:71], v[100:101]
	v_pk_fma_f32 v[68:69], v[72:73], s[6:7], v[66:67] op_sel_hi:[1,0,1] neg_lo:[0,0,1] neg_hi:[0,0,1]
	v_pk_fma_f32 v[100:101], v[72:73], s[6:7], v[66:67] op_sel_hi:[1,0,1]
	v_pk_mul_f32 v[80:81], v[80:81], s[18:19]
	v_mov_b32_e32 v126, v132
	v_pk_add_f32 v[58:59], v[58:59], v[104:105]
	v_pk_add_f32 v[52:53], v[52:53], v[102:103]
	v_mov_b32_e32 v66, v68
	v_mov_b32_e32 v67, v101
	;; [unrolled: 1-line block ×3, first 2 shown]
	v_pk_fma_f32 v[102:103], v[120:121], s[0:1], v[80:81] neg_lo:[1,0,0] neg_hi:[1,0,0]
	v_pk_fma_f32 v[104:105], v[120:121], s[0:1], v[80:81]
	v_pk_mul_f32 v[84:85], v[84:85], s[6:7]
	v_pk_mul_f32 v[88:89], v[88:89], s[24:25]
	v_pk_add_f32 v[90:91], v[126:127], v[90:91]
	v_pk_add_f32 v[64:65], v[64:65], v[110:111]
	;; [unrolled: 1-line block ×4, first 2 shown]
	v_mov_b32_e32 v103, v105
	v_pk_fma_f32 v[106:107], v[82:83], s[16:17], v[84:85] neg_lo:[1,0,0] neg_hi:[1,0,0]
	v_pk_fma_f32 v[108:109], v[82:83], s[16:17], v[84:85]
	v_pk_fma_f32 v[110:111], v[86:87], s[22:23], v[88:89] neg_lo:[1,0,0] neg_hi:[1,0,0]
	v_pk_fma_f32 v[126:127], v[86:87], s[22:23], v[88:89]
	v_pk_fma_f32 v[86:87], v[86:87], s[22:23], v[88:89] neg_lo:[0,0,1] neg_hi:[0,0,1]
	v_pk_fma_f32 v[80:81], v[120:121], s[0:1], v[80:81] neg_lo:[0,0,1] neg_hi:[0,0,1]
	s_mov_b32 s27, s30
	v_mov_b32_e32 v107, v109
	v_mov_b32_e32 v111, v127
	;; [unrolled: 1-line block ×3, first 2 shown]
	v_pk_add_f32 v[86:87], v[60:61], v[102:103]
	v_mov_b32_e32 v105, v81
	v_pk_fma_f32 v[80:81], v[82:83], s[16:17], v[84:85] neg_lo:[0,0,1] neg_hi:[0,0,1]
	s_mov_b32 s31, s26
	v_pk_mul_f32 v[76:77], v[76:77], s[26:27]
	v_pk_add_f32 v[86:87], v[106:107], v[86:87]
	v_mov_b32_e32 v109, v81
	v_pk_add_f32 v[60:61], v[60:61], v[104:105]
	v_pk_fma_f32 v[78:79], v[78:79], s[30:31], v[76:77] op_sel:[1,0,0] neg_lo:[1,0,0] neg_hi:[1,0,0]
	v_pk_fma_f32 v[82:83], v[74:75], s[30:31], v[76:77]
	v_pk_add_f32 v[60:61], v[108:109], v[60:61]
	v_pk_add_f32 v[80:81], v[110:111], v[86:87]
	v_mov_b32_e32 v79, v83
	v_pk_fma_f32 v[74:75], v[74:75], s[30:31], v[76:77] neg_lo:[0,0,1] neg_hi:[0,0,1]
	v_mov_b32_e32 v117, v115
	v_pk_mul_f32 v[100:101], v[62:63], s[46:47] op_sel:[1,0] op_sel_hi:[0,0]
	v_pk_add_f32 v[78:79], v[78:79], v[80:81]
	v_pk_add_f32 v[60:61], v[126:127], v[60:61]
	v_mov_b32_e32 v83, v75
	v_mov_b32_e32 v115, v113
	;; [unrolled: 1-line block ×3, first 2 shown]
	v_pk_add_f32 v[60:61], v[82:83], v[60:61]
	v_pk_add_f32 v[74:75], v[114:115], v[78:79]
	v_pk_fma_f32 v[78:79], v[72:73], s[28:29], v[100:101] op_sel_hi:[1,0,1] neg_lo:[0,0,1] neg_hi:[0,0,1]
	v_pk_fma_f32 v[80:81], v[72:73], s[28:29], v[100:101] op_sel_hi:[1,0,1]
	v_pk_add_f32 v[60:61], v[116:117], v[60:61]
	v_mov_b32_e32 v77, v81
	v_mov_b32_e32 v81, v79
	;; [unrolled: 1-line block ×3, first 2 shown]
	v_pk_add_f32 v[82:83], v[80:81], v[60:61]
	v_pk_mul_f32 v[60:61], v[72:73], s[38:39] op_sel_hi:[1,0]
	v_pk_add_f32 v[76:77], v[76:77], v[74:75]
	v_pk_fma_f32 v[74:75], v[62:63], s[0:1], v[60:61] op_sel:[1,0,0] op_sel_hi:[0,0,1] neg_lo:[1,0,0] neg_hi:[1,0,0]
	v_pk_fma_f32 v[60:61], v[62:63], s[0:1], v[60:61] op_sel:[1,0,0] op_sel_hi:[0,0,1]
	v_mov_b32_e32 v79, v61
	v_mov_b32_e32 v61, v75
	v_pk_add_f32 v[80:81], v[60:61], v[124:125]
	v_pk_mul_f32 v[60:61], v[72:73], s[26:27] op_sel_hi:[1,0]
	v_mov_b32_e32 v131, v133
	v_pk_fma_f32 v[72:73], v[62:63], s[44:45], v[60:61] op_sel:[1,0,0] op_sel_hi:[0,0,1] neg_lo:[1,0,0] neg_hi:[1,0,0]
	v_pk_fma_f32 v[60:61], v[62:63], s[44:45], v[60:61] op_sel:[1,0,0] op_sel_hi:[0,0,1]
	v_mov_b32_e32 v63, v61
	v_mov_b32_e32 v61, v73
	v_pk_add_f32 v[118:119], v[130:131], v[118:119]
	v_mov_b32_e32 v62, v72
	v_pk_add_f32 v[86:87], v[60:61], v[90:91]
	v_add_u32_e32 v60, 0x400, v92
	v_mov_b32_e32 v78, v74
	v_pk_add_f32 v[84:85], v[62:63], v[118:119]
	ds_write_b64 v92, v[56:57]
	ds_write_b64 v92, v[58:59] offset:952
	ds_write2_b64 v60, v[64:65], v[66:67] offset0:110 offset1:229
	v_add_u32_e32 v60, 0x1400, v92
	v_pk_add_f32 v[78:79], v[78:79], v[122:123]
	v_add_u32_e32 v61, 0xc00, v92
	ds_write2_b64 v60, v[84:85], v[86:87] offset0:74 offset1:193
	v_add_u32_e32 v60, 0x1c00, v92
	v_add_u32_e32 v62, 0x2400, v92
	ds_write2_b64 v61, v[76:77], v[78:79] offset0:92 offset1:211
	ds_write2_b64 v60, v[80:81], v[82:83] offset0:56 offset1:175
	;; [unrolled: 1-line block ×3, first 2 shown]
	ds_write_b64 v92, v[52:53] offset:11424
	s_waitcnt lgkmcnt(0)
	s_barrier
	s_and_saveexec_b64 s[0:1], s[4:5]
	s_cbranch_execz .LBB0_13
; %bb.12:
	v_mov_b32_e32 v93, 0
	v_lshl_add_u64 v[62:63], s[12:13], 0, v[92:93]
	v_add_co_u32_e32 v72, vcc, 0x3000, v62
	s_mov_b64 s[6:7], 0x3058
	s_nop 0
	v_addc_co_u32_e32 v73, vcc, 0, v63, vcc
	global_load_dwordx2 v[72:73], v[72:73], off offset:88
	v_lshl_add_u64 v[74:75], v[62:63], 0, s[6:7]
	s_movk_i32 s16, 0x4000
	global_load_dwordx2 v[116:117], v[74:75], off offset:728
	global_load_dwordx2 v[118:119], v[74:75], off offset:1456
	v_add_co_u32_e32 v88, vcc, s16, v62
	s_movk_i32 s6, 0x5000
	s_nop 0
	v_addc_co_u32_e32 v89, vcc, 0, v63, vcc
	global_load_dwordx2 v[120:121], v[74:75], off offset:2184
	global_load_dwordx2 v[122:123], v[74:75], off offset:2912
	;; [unrolled: 1-line block ×9, first 2 shown]
	v_add_co_u32_e32 v62, vcc, s6, v62
	s_nop 1
	v_addc_co_u32_e32 v63, vcc, 0, v63, vcc
	global_load_dwordx2 v[138:139], v[62:63], off offset:632
	global_load_dwordx2 v[140:141], v[62:63], off offset:1360
	global_load_dwordx2 v[142:143], v[62:63], off offset:2088
	ds_read_b64 v[74:75], v92
	global_load_dwordx2 v[144:145], v[62:63], off offset:2816
	global_load_dwordx2 v[146:147], v[62:63], off offset:3544
	s_waitcnt vmcnt(16) lgkmcnt(0)
	v_mul_f32_e32 v62, v75, v73
	v_mul_f32_e32 v63, v74, v73
	v_fma_f32 v62, v74, v72, -v62
	v_fmac_f32_e32 v63, v75, v72
	ds_write_b64 v92, v[62:63]
	ds_read2_b64 v[72:75], v92 offset0:91 offset1:182
	ds_read2_b64 v[88:91], v97 offset0:17 offset1:108
	;; [unrolled: 1-line block ×6, first 2 shown]
	s_waitcnt vmcnt(15) lgkmcnt(5)
	v_mul_f32_e32 v62, v73, v117
	v_mul_f32_e32 v63, v72, v117
	s_waitcnt vmcnt(14)
	v_mul_f32_e32 v93, v75, v119
	v_mul_f32_e32 v117, v74, v119
	s_waitcnt vmcnt(13) lgkmcnt(4)
	v_mul_f32_e32 v96, v89, v121
	v_mul_f32_e32 v119, v88, v121
	s_waitcnt vmcnt(12)
	v_mul_f32_e32 v148, v91, v123
	v_mul_f32_e32 v121, v90, v123
	s_waitcnt vmcnt(9) lgkmcnt(3)
	v_mul_f32_e32 v149, v101, v129
	v_mul_f32_e32 v123, v100, v129
	;; [unrolled: 1-line block ×4, first 2 shown]
	s_waitcnt lgkmcnt(2)
	v_mul_f32_e32 v151, v105, v127
	v_mul_f32_e32 v125, v104, v127
	s_waitcnt vmcnt(8)
	v_mul_f32_e32 v152, v107, v131
	v_mul_f32_e32 v127, v106, v131
	s_waitcnt vmcnt(7) lgkmcnt(1)
	v_mul_f32_e32 v153, v109, v133
	v_mul_f32_e32 v131, v108, v133
	s_waitcnt vmcnt(6)
	v_mul_f32_e32 v154, v111, v135
	v_mul_f32_e32 v133, v110, v135
	v_fma_f32 v62, v72, v116, -v62
	v_fmac_f32_e32 v63, v73, v116
	v_fma_f32 v116, v74, v118, -v93
	v_fmac_f32_e32 v117, v75, v118
	;; [unrolled: 2-line block ×10, first 2 shown]
	ds_write2_b64 v92, v[62:63], v[116:117] offset0:91 offset1:182
	ds_write2_b64 v97, v[118:119], v[120:121] offset0:17 offset1:108
	;; [unrolled: 1-line block ×5, first 2 shown]
	ds_read2_b64 v[72:75], v95 offset0:159 offset1:250
	s_waitcnt vmcnt(5) lgkmcnt(6)
	v_mul_f32_e32 v135, v113, v137
	v_mul_f32_e32 v63, v112, v137
	s_waitcnt vmcnt(4)
	v_mul_f32_e32 v61, v115, v139
	v_mul_f32_e32 v89, v114, v139
	v_fma_f32 v62, v112, v136, -v135
	v_fmac_f32_e32 v63, v113, v136
	v_fma_f32 v88, v114, v138, -v61
	v_fmac_f32_e32 v89, v115, v138
	ds_write2_b64 v60, v[62:63], v[88:89] offset0:105 offset1:196
	s_waitcnt vmcnt(3) lgkmcnt(1)
	v_mul_f32_e32 v60, v73, v141
	v_fma_f32 v88, v72, v140, -v60
	ds_read2_b64 v[60:63], v94 offset0:85 offset1:176
	v_mul_f32_e32 v89, v72, v141
	v_fmac_f32_e32 v89, v73, v140
	s_waitcnt vmcnt(2)
	v_mul_f32_e32 v72, v75, v143
	v_mul_f32_e32 v73, v74, v143
	v_fma_f32 v72, v74, v142, -v72
	v_fmac_f32_e32 v73, v75, v142
	ds_write2_b64 v95, v[88:89], v[72:73] offset0:159 offset1:250
	s_waitcnt vmcnt(1) lgkmcnt(1)
	v_mul_f32_e32 v72, v61, v145
	v_mul_f32_e32 v73, v60, v145
	v_fma_f32 v72, v60, v144, -v72
	v_fmac_f32_e32 v73, v61, v144
	s_waitcnt vmcnt(0)
	v_mul_f32_e32 v60, v63, v147
	v_mul_f32_e32 v61, v62, v147
	v_accvgpr_read_b32 v93, a1
	v_fma_f32 v60, v62, v146, -v60
	v_fmac_f32_e32 v61, v63, v146
	ds_write2_b64 v94, v[72:73], v[60:61] offset0:85 offset1:176
.LBB0_13:
	s_or_b64 exec, exec, s[0:1]
	s_waitcnt lgkmcnt(0)
	s_barrier
	s_and_saveexec_b64 s[0:1], s[4:5]
	s_cbranch_execz .LBB0_15
; %bb.14:
	v_add_u32_e32 v0, 0x400, v92
	ds_read2_b64 v[64:67], v0 offset0:54 offset1:145
	v_add_u32_e32 v0, 0x800, v92
	ds_read2_b64 v[76:79], v0 offset0:108 offset1:199
	;; [unrolled: 2-line block ×6, first 2 shown]
	v_add_u32_e32 v0, 0x2400, v92
	ds_read2_b64 v[56:59], v92 offset1:91
	ds_read2_b64 v[0:3], v0 offset0:122 offset1:213
	ds_read_b64 v[176:177], v92 offset:11648
.LBB0_15:
	s_or_b64 exec, exec, s[0:1]
	s_waitcnt lgkmcnt(0)
	v_pk_add_f32 v[142:143], v[176:177], v[58:59]
	v_pk_add_f32 v[146:147], v[58:59], v[176:177] neg_lo:[0,1] neg_hi:[0,1]
	s_mov_b32 s16, 0xbf7ee86f
	s_mov_b32 s20, 0xbf7ba420
	v_pk_add_f32 v[90:91], v[64:65], v[2:3] neg_lo:[0,1] neg_hi:[0,1]
	v_pk_add_f32 v[72:73], v[64:65], v[2:3]
	v_mov_b32_e32 v88, v147
	v_mov_b32_e32 v89, v143
	s_mov_b32 s17, 0x3dbcf732
	s_mov_b32 s21, 0xbe3c28d5
	v_mov_b32_e32 v144, v91
	v_mov_b32_e32 v145, v73
	v_pk_mul_f32 v[102:103], v[88:89], s[16:17]
	v_mov_b32_e32 v228, v142
	v_mov_b32_e32 v229, v146
	s_mov_b32 s0, s17
	s_mov_b32 s1, s16
	;; [unrolled: 1-line block ×4, first 2 shown]
	v_mov_b32_e32 v100, v72
	v_mov_b32_e32 v101, v90
	v_pk_fma_f32 v[60:61], v[228:229], s[0:1], v[102:103] neg_lo:[0,0,1] neg_hi:[0,0,1]
	v_pk_fma_f32 v[106:107], v[228:229], s[0:1], v[102:103]
	v_pk_mul_f32 v[116:117], v[144:145], s[46:47]
	v_mov_b32_e32 v61, v107
	v_pk_fma_f32 v[62:63], v[100:101], s[20:21], v[116:117] neg_lo:[0,0,1] neg_hi:[0,0,1]
	v_pk_fma_f32 v[118:119], v[100:101], s[20:21], v[116:117]
	s_mov_b32 s39, 0x3f763a35
	v_pk_add_f32 v[136:137], v[66:67], v[0:1] neg_lo:[0,1] neg_hi:[0,1]
	v_pk_add_f32 v[60:61], v[56:57], v[60:61]
	v_mov_b32_e32 v63, v119
	s_mov_b32 s24, 0xbe8c1d8e
	s_mov_b32 s6, s39
	v_pk_add_f32 v[134:135], v[0:1], v[66:67]
	v_pk_add_f32 v[60:61], v[62:63], v[60:61]
	s_mov_b32 s25, 0xbf763a35
	v_pk_mul_f32 v[62:63], v[136:137], s[6:7] op_sel_hi:[1,0]
	v_pk_add_f32 v[132:133], v[76:77], v[54:55] neg_lo:[0,1] neg_hi:[0,1]
	v_pk_fma_f32 v[74:75], v[134:135], s[24:25], v[62:63] op_sel:[0,0,1] op_sel_hi:[1,0,0] neg_lo:[0,0,1] neg_hi:[0,0,1]
	v_pk_fma_f32 v[130:131], v[134:135], s[24:25], v[62:63] op_sel:[0,0,1] op_sel_hi:[1,0,0]
	v_mov_b32_e32 v62, v74
	v_mov_b32_e32 v63, v131
	s_mov_b32 s34, 0x3eb8f4ab
	v_pk_add_f32 v[126:127], v[54:55], v[76:77]
	v_pk_add_f32 v[60:61], v[62:63], v[60:61]
	s_mov_b32 s22, 0x3f6eb680
	v_pk_mul_f32 v[62:63], v[132:133], s[34:35] op_sel_hi:[1,0]
	v_accvgpr_write_b32 a3, v75
	v_pk_fma_f32 v[74:75], v[126:127], s[22:23], v[62:63] op_sel:[0,0,1] op_sel_hi:[1,0,0] neg_lo:[0,0,1] neg_hi:[0,0,1]
	v_pk_fma_f32 v[140:141], v[126:127], s[22:23], v[62:63] op_sel:[0,0,1] op_sel_hi:[1,0,0]
	v_pk_add_f32 v[124:125], v[78:79], v[52:53] neg_lo:[0,1] neg_hi:[0,1]
	v_mov_b32_e32 v62, v74
	v_mov_b32_e32 v63, v141
	s_mov_b32 s36, 0xbf65296c
	v_pk_add_f32 v[122:123], v[52:53], v[78:79]
	v_pk_add_f32 v[60:61], v[62:63], v[60:61]
	s_mov_b32 s30, 0x3ee437d1
	v_pk_mul_f32 v[62:63], v[124:125], s[36:37] op_sel_hi:[1,0]
	v_accvgpr_write_b32 a5, v75
	v_pk_fma_f32 v[74:75], v[122:123], s[30:31], v[62:63] op_sel:[0,0,1] op_sel_hi:[1,0,0] neg_lo:[0,0,1] neg_hi:[0,0,1]
	v_pk_fma_f32 v[150:151], v[122:123], s[30:31], v[62:63] op_sel:[0,0,1] op_sel_hi:[1,0,0]
	v_pk_add_f32 v[120:121], v[84:85], v[70:71] neg_lo:[0,1] neg_hi:[0,1]
	v_mov_b32_e32 v62, v74
	v_mov_b32_e32 v63, v151
	s_mov_b32 s26, 0xbf59a7d5
	s_mov_b32 s28, 0xbf06c442
	v_pk_add_f32 v[114:115], v[70:71], v[84:85]
	v_pk_add_f32 v[60:61], v[62:63], v[60:61]
	s_mov_b32 s27, 0x3f06c442
	v_pk_mul_f32 v[62:63], v[120:121], s[28:29] op_sel_hi:[1,0]
	v_accvgpr_write_b32 a7, v75
	v_pk_fma_f32 v[74:75], v[114:115], s[26:27], v[62:63] op_sel:[0,0,1] op_sel_hi:[1,0,0] neg_lo:[0,0,1] neg_hi:[0,0,1]
	v_pk_fma_f32 v[154:155], v[114:115], s[26:27], v[62:63] op_sel:[0,0,1] op_sel_hi:[1,0,0]
	s_mov_b32 s42, 0xbf4c4adb
	v_pk_add_f32 v[112:113], v[86:87], v[68:69] neg_lo:[0,1] neg_hi:[0,1]
	v_mov_b32_e32 v62, v74
	v_mov_b32_e32 v63, v155
	s_mov_b32 s43, 0xbf1a4643
	s_mov_b32 s58, 0x3f4c4adb
	v_pk_add_f32 v[110:111], v[68:69], v[86:87]
	v_pk_add_f32 v[60:61], v[62:63], v[60:61]
	s_mov_b32 s52, s43
	v_pk_mul_f32 v[62:63], v[112:113], s[58:59] op_sel_hi:[1,0]
	v_accvgpr_write_b32 a9, v75
	v_pk_fma_f32 v[74:75], v[110:111], s[52:53], v[62:63] op_sel:[0,0,1] op_sel_hi:[1,0,0] neg_lo:[0,0,1] neg_hi:[0,0,1]
	v_pk_fma_f32 v[158:159], v[110:111], s[52:53], v[62:63] op_sel:[0,0,1] op_sel_hi:[1,0,0]
	v_pk_add_f32 v[108:109], v[80:81], v[82:83] neg_lo:[0,1] neg_hi:[0,1]
	v_mov_b32_e32 v62, v74
	v_mov_b32_e32 v63, v159
	s_mov_b32 s40, 0x3f2c7751
	v_pk_add_f32 v[104:105], v[82:83], v[80:81]
	v_pk_add_f32 v[60:61], v[62:63], v[60:61]
	s_mov_b32 s6, 0x3f3d2fb0
	v_pk_mul_f32 v[62:63], v[108:109], s[40:41] op_sel_hi:[1,0]
	v_accvgpr_write_b32 a11, v75
	v_pk_fma_f32 v[74:75], v[104:105], s[6:7], v[62:63] op_sel:[0,0,1] op_sel_hi:[1,0,0] neg_lo:[0,0,1] neg_hi:[0,0,1]
	v_pk_fma_f32 v[162:163], v[104:105], s[6:7], v[62:63] op_sel:[0,0,1] op_sel_hi:[1,0,0]
	s_mov_b32 s18, s25
	s_mov_b32 s19, s24
	v_mov_b32_e32 v62, v74
	v_mov_b32_e32 v63, v163
	v_pk_mul_f32 v[164:165], v[88:89], s[18:19]
	s_mov_b32 s18, s27
	s_mov_b32 s19, s26
	v_pk_add_f32 v[62:63], v[62:63], v[60:61]
	v_pk_fma_f32 v[60:61], v[228:229], s[24:25], v[164:165] neg_lo:[0,0,1] neg_hi:[0,0,1]
	v_pk_fma_f32 v[166:167], v[228:229], s[24:25], v[164:165]
	v_pk_mul_f32 v[168:169], v[144:145], s[18:19]
	v_accvgpr_write_b32 a13, v75
	v_mov_b32_e32 v61, v167
	v_pk_fma_f32 v[74:75], v[100:101], s[26:27], v[168:169] neg_lo:[0,0,1] neg_hi:[0,0,1]
	v_pk_fma_f32 v[170:171], v[100:101], s[26:27], v[168:169]
	v_pk_add_f32 v[60:61], v[56:57], v[60:61]
	v_mov_b32_e32 v75, v171
	v_pk_add_f32 v[60:61], v[74:75], v[60:61]
	v_pk_mul_f32 v[74:75], v[136:137], s[40:41] op_sel_hi:[1,0]
	s_mov_b32 s60, s21
	v_pk_fma_f32 v[94:95], v[134:135], s[6:7], v[74:75] op_sel:[0,0,1] op_sel_hi:[1,0,0] neg_lo:[0,0,1] neg_hi:[0,0,1]
	v_pk_fma_f32 v[174:175], v[134:135], s[6:7], v[74:75] op_sel:[0,0,1] op_sel_hi:[1,0,0]
	v_mov_b32_e32 v74, v94
	v_mov_b32_e32 v75, v175
	v_pk_add_f32 v[60:61], v[74:75], v[60:61]
	v_pk_mul_f32 v[74:75], v[132:133], s[36:37] op_sel_hi:[1,0]
	v_accvgpr_write_b32 a15, v95
	v_pk_fma_f32 v[94:95], v[126:127], s[30:31], v[74:75] op_sel:[0,0,1] op_sel_hi:[1,0,0] neg_lo:[0,0,1] neg_hi:[0,0,1]
	v_pk_fma_f32 v[178:179], v[126:127], s[30:31], v[74:75] op_sel:[0,0,1] op_sel_hi:[1,0,0]
	v_mov_b32_e32 v74, v94
	v_mov_b32_e32 v75, v179
	v_pk_add_f32 v[60:61], v[74:75], v[60:61]
	v_pk_mul_f32 v[74:75], v[124:125], s[60:61] op_sel_hi:[1,0]
	v_accvgpr_write_b32 a17, v95
	v_pk_fma_f32 v[94:95], v[122:123], s[20:21], v[74:75] op_sel:[0,0,1] op_sel_hi:[1,0,0] neg_lo:[0,0,1] neg_hi:[0,0,1]
	v_pk_fma_f32 v[182:183], v[122:123], s[20:21], v[74:75] op_sel:[0,0,1] op_sel_hi:[1,0,0]
	v_mov_b32_e32 v74, v94
	v_mov_b32_e32 v75, v183
	s_mov_b32 s56, 0x3f7ee86f
	v_pk_add_f32 v[60:61], v[74:75], v[60:61]
	s_mov_b32 s54, s17
	v_pk_mul_f32 v[74:75], v[120:121], s[56:57] op_sel_hi:[1,0]
	s_mov_b32 s44, 0xbeb8f4ab
	v_pk_fma_f32 v[184:185], v[114:115], s[54:55], v[74:75] op_sel:[0,0,1] op_sel_hi:[1,0,0] neg_lo:[0,0,1] neg_hi:[0,0,1]
	v_pk_fma_f32 v[186:187], v[114:115], s[54:55], v[74:75] op_sel:[0,0,1] op_sel_hi:[1,0,0]
	v_mov_b32_e32 v74, v184
	v_mov_b32_e32 v75, v187
	v_pk_add_f32 v[60:61], v[74:75], v[60:61]
	v_pk_mul_f32 v[74:75], v[112:113], s[44:45] op_sel_hi:[1,0]
	v_pk_mul_f32 v[192:193], v[88:89], s[42:43]
	v_pk_fma_f32 v[188:189], v[110:111], s[22:23], v[74:75] op_sel:[0,0,1] op_sel_hi:[1,0,0] neg_lo:[0,0,1] neg_hi:[0,0,1]
	v_pk_fma_f32 v[190:191], v[110:111], s[22:23], v[74:75] op_sel:[0,0,1] op_sel_hi:[1,0,0]
	v_mov_b32_e32 v74, v188
	v_mov_b32_e32 v75, v191
	v_pk_add_f32 v[60:61], v[74:75], v[60:61]
	v_pk_mul_f32 v[74:75], v[108:109], s[42:43] op_sel_hi:[1,0]
	s_mov_b32 s18, s43
	v_pk_fma_f32 v[196:197], v[104:105], s[52:53], v[74:75] op_sel:[0,0,1] op_sel_hi:[1,0,0] neg_lo:[0,0,1] neg_hi:[0,0,1]
	v_pk_fma_f32 v[198:199], v[104:105], s[52:53], v[74:75] op_sel:[0,0,1] op_sel_hi:[1,0,0]
	v_mov_b32_e32 v74, v196
	v_mov_b32_e32 v75, v199
	s_mov_b32 s19, s42
	s_mov_b32 s48, s39
	;; [unrolled: 1-line block ×3, first 2 shown]
	v_pk_add_f32 v[60:61], v[74:75], v[60:61]
	v_pk_fma_f32 v[194:195], v[228:229], s[18:19], v[192:193]
	v_pk_fma_f32 v[74:75], v[228:229], s[18:19], v[192:193] neg_lo:[0,0,1] neg_hi:[0,0,1]
	v_pk_mul_f32 v[200:201], v[144:145], s[48:49]
	s_mov_b32 s38, s24
	v_accvgpr_write_b32 a19, v95
	v_mov_b32_e32 v75, v195
	v_pk_fma_f32 v[202:203], v[100:101], s[38:39], v[200:201]
	v_pk_fma_f32 v[94:95], v[100:101], s[38:39], v[200:201] neg_lo:[0,0,1] neg_hi:[0,0,1]
	v_pk_add_f32 v[74:75], v[56:57], v[74:75]
	v_mov_b32_e32 v95, v203
	v_pk_add_f32 v[74:75], v[94:95], v[74:75]
	v_pk_mul_f32 v[94:95], v[136:137], s[44:45] op_sel_hi:[1,0]
	s_mov_b32 s50, 0xbf2c7751
	v_pk_fma_f32 v[204:205], v[134:135], s[22:23], v[94:95] op_sel:[0,0,1] op_sel_hi:[1,0,0]
	v_pk_fma_f32 v[206:207], v[134:135], s[22:23], v[94:95] op_sel:[0,0,1] op_sel_hi:[1,0,0] neg_lo:[0,0,1] neg_hi:[0,0,1]
	v_mov_b32_e32 v95, v205
	v_mov_b32_e32 v94, v206
	v_pk_add_f32 v[74:75], v[94:95], v[74:75]
	v_pk_mul_f32 v[94:95], v[132:133], s[28:29] op_sel_hi:[1,0]
	s_mov_b32 s48, 0x3f65296c
	v_pk_fma_f32 v[208:209], v[126:127], s[26:27], v[94:95] op_sel:[0,0,1] op_sel_hi:[1,0,0]
	v_pk_fma_f32 v[210:211], v[126:127], s[26:27], v[94:95] op_sel:[0,0,1] op_sel_hi:[1,0,0] neg_lo:[0,0,1] neg_hi:[0,0,1]
	v_mov_b32_e32 v95, v209
	;; [unrolled: 7-line block ×3, first 2 shown]
	v_mov_b32_e32 v94, v214
	v_pk_add_f32 v[74:75], v[94:95], v[74:75]
	v_pk_mul_f32 v[94:95], v[120:121], s[50:51] op_sel_hi:[1,0]
	v_pk_mul_f32 v[252:253], v[120:121], s[60:61] op_sel_hi:[1,0]
	v_pk_fma_f32 v[216:217], v[114:115], s[6:7], v[94:95] op_sel:[0,0,1] op_sel_hi:[1,0,0]
	v_pk_fma_f32 v[218:219], v[114:115], s[6:7], v[94:95] op_sel:[0,0,1] op_sel_hi:[1,0,0] neg_lo:[0,0,1] neg_hi:[0,0,1]
	v_mov_b32_e32 v95, v217
	v_mov_b32_e32 v94, v218
	v_pk_add_f32 v[74:75], v[94:95], v[74:75]
	v_pk_mul_f32 v[94:95], v[112:113], s[60:61] op_sel_hi:[1,0]
	v_pk_mul_f32 v[156:157], v[88:89], s[28:29]
	v_pk_fma_f32 v[220:221], v[110:111], s[20:21], v[94:95] op_sel:[0,0,1] op_sel_hi:[1,0,0]
	v_pk_fma_f32 v[222:223], v[110:111], s[20:21], v[94:95] op_sel:[0,0,1] op_sel_hi:[1,0,0] neg_lo:[0,0,1] neg_hi:[0,0,1]
	v_mov_b32_e32 v95, v221
	v_mov_b32_e32 v94, v222
	v_pk_add_f32 v[74:75], v[94:95], v[74:75]
	v_pk_mul_f32 v[94:95], v[108:109], s[48:49] op_sel_hi:[1,0]
	s_mov_b32 s60, s26
	v_pk_fma_f32 v[224:225], v[104:105], s[30:31], v[94:95] op_sel:[0,0,1] op_sel_hi:[1,0,0]
	v_pk_fma_f32 v[226:227], v[104:105], s[30:31], v[94:95] op_sel:[0,0,1] op_sel_hi:[1,0,0] neg_lo:[0,0,1] neg_hi:[0,0,1]
	v_mov_b32_e32 v95, v225
	v_mov_b32_e32 v94, v226
	s_mov_b32 s61, s28
	v_pk_add_f32 v[74:75], v[94:95], v[74:75]
	v_pk_mul_f32 v[94:95], v[90:91], s[48:49] op_sel:[1,0] op_sel_hi:[0,0]
	v_pk_fma_f32 v[160:161], v[228:229], s[60:61], v[156:157]
	v_pk_fma_f32 v[172:173], v[228:229], s[60:61], v[156:157] neg_lo:[1,0,0] neg_hi:[1,0,0]
	v_pk_fma_f32 v[156:157], v[228:229], s[60:61], v[156:157] neg_lo:[0,0,1] neg_hi:[0,0,1]
	v_pk_fma_f32 v[98:99], v[72:73], s[30:31], v[94:95] op_sel_hi:[1,0,1]
	v_pk_fma_f32 v[72:73], v[72:73], s[30:31], v[94:95] op_sel_hi:[1,0,1] neg_lo:[0,0,1] neg_hi:[0,0,1]
	v_pk_mul_f32 v[230:231], v[136:137], s[16:17] op_sel_hi:[1,0]
	v_mov_b32_e32 v157, v161
	v_mov_b32_e32 v161, v173
	;; [unrolled: 1-line block ×4, first 2 shown]
	v_pk_fma_f32 v[232:233], v[134:135], s[54:55], v[230:231] op_sel:[0,0,1] op_sel_hi:[1,0,0]
	v_pk_fma_f32 v[230:231], v[134:135], s[54:55], v[230:231] op_sel:[0,0,1] op_sel_hi:[1,0,0] neg_lo:[0,0,1] neg_hi:[0,0,1]
	v_pk_mul_f32 v[236:237], v[132:133], s[58:59] op_sel_hi:[1,0]
	v_pk_add_f32 v[160:161], v[56:57], v[160:161]
	v_mov_b32_e32 v234, v232
	v_mov_b32_e32 v235, v231
	v_pk_fma_f32 v[238:239], v[126:127], s[52:53], v[236:237] op_sel:[0,0,1] op_sel_hi:[1,0,0]
	v_pk_fma_f32 v[236:237], v[126:127], s[52:53], v[236:237] op_sel:[0,0,1] op_sel_hi:[1,0,0] neg_lo:[0,0,1] neg_hi:[0,0,1]
	v_pk_mul_f32 v[246:247], v[124:125], s[44:45] op_sel_hi:[1,0]
	v_pk_add_f32 v[156:157], v[56:57], v[156:157]
	v_pk_add_f32 v[94:95], v[94:95], v[160:161]
	v_mov_b32_e32 v73, v99
	v_mov_b32_e32 v240, v238
	;; [unrolled: 1-line block ×3, first 2 shown]
	v_pk_fma_f32 v[248:249], v[122:123], s[22:23], v[246:247] op_sel:[0,0,1] op_sel_hi:[1,0,0]
	v_pk_fma_f32 v[246:247], v[122:123], s[22:23], v[246:247] op_sel:[0,0,1] op_sel_hi:[1,0,0] neg_lo:[0,0,1] neg_hi:[0,0,1]
	v_pk_add_f32 v[72:73], v[72:73], v[156:157]
	v_pk_add_f32 v[94:95], v[234:235], v[94:95]
	v_mov_b32_e32 v231, v233
	v_mov_b32_e32 v250, v248
	;; [unrolled: 1-line block ×3, first 2 shown]
	v_pk_fma_f32 v[96:97], v[114:115], s[20:21], v[252:253] op_sel:[0,0,1] op_sel_hi:[1,0,0]
	v_pk_fma_f32 v[252:253], v[114:115], s[20:21], v[252:253] op_sel:[0,0,1] op_sel_hi:[1,0,0] neg_lo:[0,0,1] neg_hi:[0,0,1]
	v_pk_mul_f32 v[242:243], v[112:113], s[40:41] op_sel_hi:[1,0]
	s_mov_b32 s58, s25
	v_pk_add_f32 v[72:73], v[230:231], v[72:73]
	v_pk_add_f32 v[94:95], v[240:241], v[94:95]
	v_mov_b32_e32 v237, v239
	v_mov_b32_e32 v254, v96
	;; [unrolled: 1-line block ×3, first 2 shown]
	v_pk_fma_f32 v[128:129], v[110:111], s[6:7], v[242:243] op_sel:[0,0,1] op_sel_hi:[1,0,0]
	v_pk_fma_f32 v[242:243], v[110:111], s[6:7], v[242:243] op_sel:[0,0,1] op_sel_hi:[1,0,0] neg_lo:[0,0,1] neg_hi:[0,0,1]
	v_pk_mul_f32 v[138:139], v[108:109], s[58:59] op_sel_hi:[1,0]
	v_pk_add_f32 v[72:73], v[236:237], v[72:73]
	v_pk_add_f32 v[94:95], v[250:251], v[94:95]
	v_mov_b32_e32 v247, v249
	v_mov_b32_e32 v244, v128
	;; [unrolled: 1-line block ×3, first 2 shown]
	v_pk_fma_f32 v[152:153], v[104:105], s[24:25], v[138:139] op_sel:[0,0,1] op_sel_hi:[1,0,0]
	v_pk_fma_f32 v[138:139], v[104:105], s[24:25], v[138:139] op_sel:[0,0,1] op_sel_hi:[1,0,0] neg_lo:[0,0,1] neg_hi:[0,0,1]
	v_pk_add_f32 v[72:73], v[246:247], v[72:73]
	v_pk_add_f32 v[94:95], v[254:255], v[94:95]
	v_mov_b32_e32 v253, v97
	v_mov_b32_e32 v148, v152
	;; [unrolled: 1-line block ×3, first 2 shown]
	v_pk_add_f32 v[72:73], v[252:253], v[72:73]
	v_pk_add_f32 v[94:95], v[244:245], v[94:95]
	v_mov_b32_e32 v243, v129
	v_pk_add_f32 v[72:73], v[242:243], v[72:73]
	v_pk_add_f32 v[98:99], v[148:149], v[94:95]
	v_mov_b32_e32 v139, v153
	v_pk_mul_f32 v[94:95], v[228:229], s[20:21]
	s_mov_b32 s23, s34
	v_pk_add_f32 v[72:73], v[138:139], v[72:73]
	v_pk_fma_f32 v[96:97], v[88:89], s[46:47], v[94:95] neg_lo:[1,0,0] neg_hi:[1,0,0]
	v_pk_fma_f32 v[128:129], v[88:89], s[46:47], v[94:95]
	s_mov_b32 s35, s22
	v_pk_mul_f32 v[138:139], v[100:101], s[22:23]
	v_mov_b32_e32 v97, v129
	v_pk_fma_f32 v[90:91], v[90:91], s[34:35], v[138:139] op_sel:[1,0,0] neg_lo:[1,0,0] neg_hi:[1,0,0]
	v_pk_fma_f32 v[148:149], v[144:145], s[34:35], v[138:139]
	v_pk_add_f32 v[96:97], v[56:57], v[96:97]
	v_mov_b32_e32 v91, v149
	v_pk_add_f32 v[90:91], v[90:91], v[96:97]
	v_pk_mul_f32 v[96:97], v[136:137], s[28:29] op_sel_hi:[1,0]
	v_pk_fma_f32 v[88:89], v[88:89], s[46:47], v[94:95] neg_lo:[0,0,1] neg_hi:[0,0,1]
	v_pk_fma_f32 v[152:153], v[134:135], s[26:27], v[96:97] op_sel:[0,0,1] op_sel_hi:[1,0,0] neg_lo:[0,0,1] neg_hi:[0,0,1]
	v_pk_fma_f32 v[96:97], v[134:135], s[26:27], v[96:97] op_sel:[0,0,1] op_sel_hi:[1,0,0]
	v_mov_b32_e32 v156, v152
	v_mov_b32_e32 v157, v97
	v_pk_add_f32 v[90:91], v[156:157], v[90:91]
	v_pk_mul_f32 v[156:157], v[132:133], s[40:41] op_sel_hi:[1,0]
	v_mov_b32_e32 v129, v89
	v_pk_fma_f32 v[160:161], v[126:127], s[6:7], v[156:157] op_sel:[0,0,1] op_sel_hi:[1,0,0] neg_lo:[0,0,1] neg_hi:[0,0,1]
	v_pk_fma_f32 v[156:157], v[126:127], s[6:7], v[156:157] op_sel:[0,0,1] op_sel_hi:[1,0,0]
	v_mov_b32_e32 v172, v160
	v_mov_b32_e32 v173, v157
	v_pk_add_f32 v[90:91], v[172:173], v[90:91]
	v_pk_mul_f32 v[172:173], v[124:125], s[42:43] op_sel_hi:[1,0]
	v_pk_fma_f32 v[94:95], v[144:145], s[34:35], v[138:139] neg_lo:[0,0,1] neg_hi:[0,0,1]
	v_pk_fma_f32 v[230:231], v[122:123], s[52:53], v[172:173] op_sel:[0,0,1] op_sel_hi:[1,0,0] neg_lo:[0,0,1] neg_hi:[0,0,1]
	v_pk_fma_f32 v[172:173], v[122:123], s[52:53], v[172:173] op_sel:[0,0,1] op_sel_hi:[1,0,0]
	v_mov_b32_e32 v232, v230
	v_mov_b32_e32 v233, v173
	v_pk_add_f32 v[90:91], v[232:233], v[90:91]
	v_pk_mul_f32 v[232:233], v[120:121], s[48:49] op_sel_hi:[1,0]
	v_pk_add_f32 v[88:89], v[56:57], v[128:129]
	v_pk_fma_f32 v[234:235], v[114:115], s[30:31], v[232:233] op_sel:[0,0,1] op_sel_hi:[1,0,0] neg_lo:[0,0,1] neg_hi:[0,0,1]
	v_pk_fma_f32 v[232:233], v[114:115], s[30:31], v[232:233] op_sel:[0,0,1] op_sel_hi:[1,0,0]
	v_mov_b32_e32 v236, v234
	v_mov_b32_e32 v237, v233
	;; [unrolled: 1-line block ×3, first 2 shown]
	v_pk_add_f32 v[90:91], v[236:237], v[90:91]
	v_pk_mul_f32 v[236:237], v[112:113], s[58:59] op_sel_hi:[1,0]
	v_pk_add_f32 v[88:89], v[148:149], v[88:89]
	v_mov_b32_e32 v97, v153
	v_pk_fma_f32 v[238:239], v[110:111], s[24:25], v[236:237] op_sel:[0,0,1] op_sel_hi:[1,0,0] neg_lo:[0,0,1] neg_hi:[0,0,1]
	v_pk_fma_f32 v[236:237], v[110:111], s[24:25], v[236:237] op_sel:[0,0,1] op_sel_hi:[1,0,0]
	v_pk_add_f32 v[88:89], v[96:97], v[88:89]
	v_mov_b32_e32 v157, v161
	v_mov_b32_e32 v240, v238
	;; [unrolled: 1-line block ×3, first 2 shown]
	v_pk_add_f32 v[88:89], v[156:157], v[88:89]
	v_mov_b32_e32 v173, v231
	v_pk_add_f32 v[90:91], v[240:241], v[90:91]
	v_pk_mul_f32 v[240:241], v[108:109], s[56:57] op_sel_hi:[1,0]
	v_pk_add_f32 v[88:89], v[172:173], v[88:89]
	v_mov_b32_e32 v233, v235
	v_pk_add_f32 v[88:89], v[232:233], v[88:89]
	v_mov_b32_e32 v237, v239
	v_pk_fma_f32 v[94:95], v[104:105], s[54:55], v[240:241] op_sel:[0,0,1] op_sel_hi:[1,0,0]
	v_pk_fma_f32 v[96:97], v[104:105], s[54:55], v[240:241] op_sel:[0,0,1] op_sel_hi:[1,0,0] neg_lo:[0,0,1] neg_hi:[0,0,1]
	v_pk_add_f32 v[88:89], v[236:237], v[88:89]
	v_mov_b32_e32 v128, v94
	v_mov_b32_e32 v129, v97
	;; [unrolled: 1-line block ×3, first 2 shown]
	v_pk_add_f32 v[88:89], v[128:129], v[88:89]
	v_pk_add_f32 v[90:91], v[96:97], v[90:91]
	s_barrier
	s_and_saveexec_b64 s[46:47], s[4:5]
	s_cbranch_execz .LBB0_17
; %bb.16:
	v_pk_add_f32 v[58:59], v[58:59], v[56:57]
	v_pk_mul_f32 v[94:95], v[100:101], s[26:27]
	v_pk_add_f32 v[58:59], v[64:65], v[58:59]
	v_accvgpr_write_b32 a22, v94
	v_pk_add_f32 v[58:59], v[66:67], v[58:59]
	v_accvgpr_write_b32 a23, v95
	v_pk_add_f32 v[58:59], v[76:77], v[58:59]
	v_pk_mul_f32 v[94:95], v[100:101], s[38:39]
	v_pk_add_f32 v[58:59], v[78:79], v[58:59]
	v_pk_mul_f32 v[96:97], v[146:147], s[44:45] op_sel_hi:[1,0]
	v_pk_add_f32 v[58:59], v[84:85], v[58:59]
	s_mov_b32 s51, s6
	v_pk_add_f32 v[58:59], v[86:87], v[58:59]
	v_accvgpr_write_b32 a20, v94
	v_pk_add_f32 v[58:59], v[80:81], v[58:59]
	v_accvgpr_read_b32 v64, a4
	v_pk_add_f32 v[58:59], v[82:83], v[58:59]
	v_pk_fma_f32 v[148:149], v[142:143], s[22:23], v[96:97] op_sel:[0,0,1] op_sel_hi:[1,0,0]
	v_pk_add_f32 v[58:59], v[68:69], v[58:59]
	s_mov_b32 s7, s50
	v_pk_add_f32 v[58:59], v[70:71], v[58:59]
	v_accvgpr_write_b32 a21, v95
	v_pk_add_f32 v[52:53], v[52:53], v[58:59]
	v_lshlrev_b32_e32 v93, 3, v64
	v_pk_add_f32 v[52:53], v[54:55], v[52:53]
	v_pk_mul_f32 v[54:55], v[144:145], s[50:51]
	v_pk_add_f32 v[0:1], v[0:1], v[52:53]
	v_mov_b32_e32 v52, v148
	v_pk_add_f32 v[0:1], v[2:3], v[0:1]
	v_pk_fma_f32 v[2:3], v[142:143], s[22:23], v[96:97] op_sel:[0,0,1] op_sel_hi:[1,0,0] neg_lo:[0,0,1] neg_hi:[0,0,1]
	v_pk_fma_f32 v[94:95], v[100:101], s[6:7], v[54:55]
	v_mov_b32_e32 v53, v3
	v_pk_fma_f32 v[64:65], v[100:101], s[6:7], v[54:55] neg_lo:[1,0,0] neg_hi:[1,0,0]
	v_pk_add_f32 v[58:59], v[56:57], v[52:53]
	v_mov_b32_e32 v64, v94
	v_pk_add_f32 v[66:67], v[64:65], v[58:59]
	v_pk_mul_f32 v[64:65], v[136:137], s[36:37] op_sel_hi:[1,0]
	s_mov_b32 s38, s17
	v_pk_fma_f32 v[58:59], v[134:135], s[30:31], v[64:65] op_sel:[0,0,1] op_sel_hi:[1,0,0]
	v_pk_fma_f32 v[64:65], v[134:135], s[30:31], v[64:65] op_sel:[0,0,1] op_sel_hi:[1,0,0] neg_lo:[0,0,1] neg_hi:[0,0,1]
	v_mov_b32_e32 v68, v58
	v_mov_b32_e32 v69, v65
	v_pk_add_f32 v[70:71], v[68:69], v[66:67]
	v_pk_mul_f32 v[68:69], v[132:133], s[16:17] op_sel_hi:[1,0]
	s_mov_b32 s52, s25
	v_pk_fma_f32 v[66:67], v[126:127], s[38:39], v[68:69] op_sel:[0,0,1] op_sel_hi:[1,0,0]
	v_pk_fma_f32 v[68:69], v[126:127], s[38:39], v[68:69] op_sel:[0,0,1] op_sel_hi:[1,0,0] neg_lo:[0,0,1] neg_hi:[0,0,1]
	v_mov_b32_e32 v76, v66
	;; [unrolled: 7-line block ×4, first 2 shown]
	v_mov_b32_e32 v85, v81
	v_pk_add_f32 v[86:87], v[84:85], v[82:83]
	v_pk_mul_f32 v[84:85], v[112:113], s[28:29] op_sel_hi:[1,0]
	v_pk_add_f32 v[156:157], v[176:177], v[0:1]
	v_pk_fma_f32 v[82:83], v[110:111], s[26:27], v[84:85] op_sel:[0,0,1] op_sel_hi:[1,0,0]
	v_pk_fma_f32 v[84:85], v[110:111], s[26:27], v[84:85] op_sel:[0,0,1] op_sel_hi:[1,0,0] neg_lo:[0,0,1] neg_hi:[0,0,1]
	v_mov_b32_e32 v96, v82
	v_mov_b32_e32 v97, v85
	v_pk_add_f32 v[160:161], v[96:97], v[86:87]
	v_pk_mul_f32 v[96:97], v[108:109], s[54:55] op_sel_hi:[1,0]
	v_pk_mul_f32 v[236:237], v[144:145], s[16:17]
	v_pk_fma_f32 v[86:87], v[104:105], s[20:21], v[96:97] op_sel:[0,0,1] op_sel_hi:[1,0,0]
	v_pk_fma_f32 v[96:97], v[104:105], s[20:21], v[96:97] op_sel:[0,0,1] op_sel_hi:[1,0,0] neg_lo:[0,0,1] neg_hi:[0,0,1]
	v_mov_b32_e32 v172, v86
	v_mov_b32_e32 v173, v97
	v_pk_add_f32 v[160:161], v[172:173], v[160:161]
	ds_write2_b64 v93, v[156:157], v[160:161] offset1:1
	v_pk_mul_f32 v[156:157], v[146:147], s[50:51] op_sel_hi:[1,0]
	v_pk_fma_f32 v[234:235], v[100:101], s[0:1], v[236:237]
	v_pk_fma_f32 v[230:231], v[142:143], s[6:7], v[156:157] op_sel:[0,0,1] op_sel_hi:[1,0,0]
	v_pk_fma_f32 v[232:233], v[142:143], s[6:7], v[156:157] op_sel:[0,0,1] op_sel_hi:[1,0,0] neg_lo:[0,0,1] neg_hi:[0,0,1]
	v_mov_b32_e32 v156, v230
	v_mov_b32_e32 v157, v233
	v_pk_fma_f32 v[160:161], v[100:101], s[0:1], v[236:237] neg_lo:[1,0,0] neg_hi:[1,0,0]
	v_pk_add_f32 v[156:157], v[56:57], v[156:157]
	v_mov_b32_e32 v160, v234
	v_pk_add_f32 v[156:157], v[160:161], v[156:157]
	v_pk_mul_f32 v[160:161], v[136:137], s[42:43] op_sel_hi:[1,0]
	s_mov_b32 s50, s27
	v_pk_fma_f32 v[238:239], v[134:135], s[52:53], v[160:161] op_sel:[0,0,1] op_sel_hi:[1,0,0]
	v_pk_fma_f32 v[240:241], v[134:135], s[52:53], v[160:161] op_sel:[0,0,1] op_sel_hi:[1,0,0] neg_lo:[0,0,1] neg_hi:[0,0,1]
	v_mov_b32_e32 v160, v238
	v_mov_b32_e32 v161, v241
	v_pk_add_f32 v[156:157], v[160:161], v[156:157]
	v_pk_mul_f32 v[160:161], v[132:133], s[54:55] op_sel_hi:[1,0]
	v_pk_mul_f32 v[146:147], v[146:147], s[36:37] op_sel_hi:[1,0]
	v_pk_fma_f32 v[172:173], v[126:127], s[20:21], v[160:161] op_sel:[0,0,1] op_sel_hi:[1,0,0]
	v_pk_fma_f32 v[160:161], v[126:127], s[20:21], v[160:161] op_sel:[0,0,1] op_sel_hi:[1,0,0] neg_lo:[0,0,1] neg_hi:[0,0,1]
	v_mov_b32_e32 v242, v172
	v_mov_b32_e32 v243, v161
	v_pk_add_f32 v[156:157], v[242:243], v[156:157]
	v_pk_mul_f32 v[242:243], v[124:125], s[50:51] op_sel_hi:[1,0]
	s_mov_b32 s50, s39
	v_pk_fma_f32 v[244:245], v[122:123], s[26:27], v[242:243] op_sel:[0,0,1] op_sel_hi:[1,0,0]
	v_pk_fma_f32 v[242:243], v[122:123], s[26:27], v[242:243] op_sel:[0,0,1] op_sel_hi:[1,0,0] neg_lo:[0,0,1] neg_hi:[0,0,1]
	v_mov_b32_e32 v246, v244
	v_mov_b32_e32 v247, v243
	v_pk_add_f32 v[156:157], v[246:247], v[156:157]
	v_pk_mul_f32 v[246:247], v[120:121], s[50:51] op_sel_hi:[1,0]
	v_pk_mul_f32 v[144:145], v[144:145], s[42:43]
	v_pk_fma_f32 v[248:249], v[114:115], s[24:25], v[246:247] op_sel:[0,0,1] op_sel_hi:[1,0,0]
	v_pk_fma_f32 v[246:247], v[114:115], s[24:25], v[246:247] op_sel:[0,0,1] op_sel_hi:[1,0,0] neg_lo:[0,0,1] neg_hi:[0,0,1]
	v_mov_b32_e32 v250, v248
	v_mov_b32_e32 v251, v247
	v_pk_add_f32 v[156:157], v[250:251], v[156:157]
	v_pk_mul_f32 v[250:251], v[112:113], s[48:49] op_sel_hi:[1,0]
	v_mov_b32_e32 v3, v180
	v_pk_fma_f32 v[252:253], v[110:111], s[30:31], v[250:251] op_sel:[0,0,1] op_sel_hi:[1,0,0]
	v_pk_fma_f32 v[250:251], v[110:111], s[30:31], v[250:251] op_sel:[0,0,1] op_sel_hi:[1,0,0] neg_lo:[0,0,1] neg_hi:[0,0,1]
	v_mov_b32_e32 v254, v252
	v_mov_b32_e32 v255, v251
	v_pk_add_f32 v[156:157], v[254:255], v[156:157]
	v_pk_mul_f32 v[254:255], v[108:109], s[34:35] op_sel_hi:[1,0]
	v_pk_fma_f32 v[176:177], v[100:101], s[18:19], v[144:145] neg_lo:[1,0,0] neg_hi:[1,0,0]
	v_pk_fma_f32 v[52:53], v[104:105], s[22:23], v[254:255] op_sel:[0,0,1] op_sel_hi:[1,0,0]
	v_pk_fma_f32 v[254:255], v[104:105], s[22:23], v[254:255] op_sel:[0,0,1] op_sel_hi:[1,0,0] neg_lo:[0,0,1] neg_hi:[0,0,1]
	v_mov_b32_e32 v0, v52
	v_mov_b32_e32 v1, v255
	v_pk_add_f32 v[0:1], v[0:1], v[156:157]
	v_pk_fma_f32 v[156:157], v[142:143], s[30:31], v[146:147] op_sel:[0,0,1] op_sel_hi:[1,0,0]
	v_pk_fma_f32 v[142:143], v[142:143], s[30:31], v[146:147] op_sel:[0,0,1] op_sel_hi:[1,0,0] neg_lo:[0,0,1] neg_hi:[0,0,1]
	v_mov_b32_e32 v146, v156
	v_mov_b32_e32 v147, v143
	;; [unrolled: 1-line block ×3, first 2 shown]
	v_pk_fma_f32 v[180:181], v[100:101], s[18:19], v[144:145]
	s_mov_b32 s30, 0x3e3c28d5
	v_pk_add_f32 v[146:147], v[56:57], v[146:147]
	v_mov_b32_e32 v176, v180
	v_pk_mul_f32 v[136:137], v[136:137], s[30:31] op_sel_hi:[1,0]
	v_pk_add_f32 v[146:147], v[176:177], v[146:147]
	v_pk_fma_f32 v[176:177], v[134:135], s[20:21], v[136:137] op_sel:[0,0,1] op_sel_hi:[1,0,0]
	v_pk_fma_f32 v[134:135], v[134:135], s[20:21], v[136:137] op_sel:[0,0,1] op_sel_hi:[1,0,0] neg_lo:[0,0,1] neg_hi:[0,0,1]
	v_mov_b32_e32 v136, v176
	v_mov_b32_e32 v137, v135
	v_pk_mul_f32 v[132:133], v[132:133], s[50:51] op_sel_hi:[1,0]
	v_pk_add_f32 v[136:137], v[136:137], v[146:147]
	v_pk_fma_f32 v[146:147], v[126:127], s[24:25], v[132:133] op_sel:[0,0,1] op_sel_hi:[1,0,0]
	v_pk_fma_f32 v[126:127], v[126:127], s[24:25], v[132:133] op_sel:[0,0,1] op_sel_hi:[1,0,0] neg_lo:[0,0,1] neg_hi:[0,0,1]
	v_mov_b32_e32 v132, v146
	;; [unrolled: 6-line block ×6, first 2 shown]
	v_mov_b32_e32 v109, v105
	v_pk_mul_f32 v[128:129], v[228:229], s[0:1]
	v_pk_add_f32 v[108:109], v[108:109], v[112:113]
	ds_write2_b64 v93, v[0:1], v[108:109] offset0:2 offset1:3
	v_pk_add_f32 v[0:1], v[102:103], v[128:129] neg_lo:[0,1] neg_hi:[0,1]
	v_pk_mul_f32 v[138:139], v[100:101], s[20:21]
	v_mov_b32_e32 v107, v1
	v_pk_mul_f32 v[152:153], v[228:229], s[24:25]
	v_pk_add_f32 v[0:1], v[56:57], v[106:107]
	v_pk_add_f32 v[102:103], v[116:117], v[138:139] neg_lo:[0,1] neg_hi:[0,1]
	v_accvgpr_read_b32 v107, a23
	v_mov_b32_e32 v119, v103
	v_pk_add_f32 v[102:103], v[164:165], v[152:153] neg_lo:[0,1] neg_hi:[0,1]
	v_accvgpr_read_b32 v106, a22
	v_mov_b32_e32 v167, v103
	v_pk_add_f32 v[106:107], v[168:169], v[106:107] neg_lo:[0,1] neg_hi:[0,1]
	v_pk_add_f32 v[102:103], v[56:57], v[166:167]
	v_mov_b32_e32 v171, v107
	v_pk_add_f32 v[0:1], v[118:119], v[0:1]
	v_accvgpr_read_b32 v131, a3
	v_pk_add_f32 v[102:103], v[170:171], v[102:103]
	v_accvgpr_read_b32 v175, a15
	;; [unrolled: 2-line block ×7, first 2 shown]
	v_pk_add_f32 v[102:103], v[182:183], v[102:103]
	v_mov_b32_e32 v187, v185
	v_pk_add_f32 v[0:1], v[154:155], v[0:1]
	v_accvgpr_read_b32 v159, a11
	v_pk_add_f32 v[102:103], v[186:187], v[102:103]
	v_mov_b32_e32 v191, v189
	v_pk_add_f32 v[0:1], v[158:159], v[0:1]
	v_accvgpr_read_b32 v163, a13
	v_pk_add_f32 v[102:103], v[190:191], v[102:103]
	v_mov_b32_e32 v199, v197
	v_pk_add_f32 v[0:1], v[162:163], v[0:1]
	v_pk_add_f32 v[102:103], v[198:199], v[102:103]
	v_pk_mul_f32 v[228:229], v[228:229], s[18:19]
	ds_write2_b64 v93, v[0:1], v[102:103] offset0:4 offset1:5
	v_accvgpr_read_b32 v103, a21
	v_pk_add_f32 v[0:1], v[192:193], v[228:229] neg_lo:[0,1] neg_hi:[0,1]
	v_accvgpr_read_b32 v102, a20
	v_mov_b32_e32 v195, v1
	v_pk_add_f32 v[102:103], v[200:201], v[102:103] neg_lo:[0,1] neg_hi:[0,1]
	v_pk_add_f32 v[0:1], v[56:57], v[194:195]
	v_mov_b32_e32 v203, v103
	v_pk_add_f32 v[0:1], v[202:203], v[0:1]
	v_mov_b32_e32 v205, v207
	;; [unrolled: 2-line block ×8, first 2 shown]
	v_pk_fma_f32 v[102:103], v[100:101], s[18:19], v[144:145] neg_lo:[0,0,1] neg_hi:[0,0,1]
	ds_write2_b64 v93, v[0:1], v[98:99] offset0:6 offset1:7
	ds_write2_b64 v93, v[88:89], v[90:91] offset0:8 offset1:9
	;; [unrolled: 1-line block ×4, first 2 shown]
	v_pk_add_f32 v[0:1], v[56:57], v[142:143]
	v_mov_b32_e32 v103, v181
	v_pk_add_f32 v[0:1], v[102:103], v[0:1]
	v_mov_b32_e32 v135, v177
	;; [unrolled: 2-line block ×8, first 2 shown]
	v_pk_fma_f32 v[104:105], v[100:101], s[0:1], v[236:237] neg_lo:[0,0,1] neg_hi:[0,0,1]
	v_pk_add_f32 v[102:103], v[56:57], v[232:233]
	v_mov_b32_e32 v105, v235
	v_pk_add_f32 v[102:103], v[104:105], v[102:103]
	v_mov_b32_e32 v241, v239
	;; [unrolled: 2-line block ×7, first 2 shown]
	v_mov_b32_e32 v180, v3
	v_mov_b32_e32 v181, v52
	v_pk_add_f32 v[52:53], v[254:255], v[102:103]
	v_mov_b32_e32 v3, v149
	ds_write2_b64 v93, v[0:1], v[52:53] offset0:14 offset1:15
	v_pk_add_f32 v[0:1], v[56:57], v[2:3]
	v_pk_fma_f32 v[2:3], v[100:101], s[6:7], v[54:55] neg_lo:[0,0,1] neg_hi:[0,0,1]
	v_mov_b32_e32 v65, v59
	v_mov_b32_e32 v3, v95
	v_pk_add_f32 v[0:1], v[2:3], v[0:1]
	v_mov_b32_e32 v69, v67
	v_pk_add_f32 v[0:1], v[64:65], v[0:1]
	;; [unrolled: 2-line block ×6, first 2 shown]
	s_nop 0
	v_pk_add_f32 v[0:1], v[96:97], v[0:1]
	ds_write_b64 v93, v[0:1] offset:128
	v_accvgpr_read_b32 v93, a1
.LBB0_17:
	s_or_b64 exec, exec, s[46:47]
	v_add_u32_e32 v52, 0xd00, v92
	s_waitcnt lgkmcnt(0)
	s_barrier
	ds_read2_b64 v[56:59], v52 offset0:26 offset1:247
	v_add_u32_e32 v52, 0x1b00, v92
	ds_read2_b64 v[0:3], v92 offset1:221
	ds_read2_b64 v[52:55], v52 offset0:20 offset1:241
	ds_read_b64 v[94:95], v92 offset:10608
	s_and_saveexec_b64 s[0:1], s[2:3]
	s_cbranch_execz .LBB0_19
; %bb.18:
	v_add_u32_e32 v60, 0xa00, v92
	ds_read2_b64 v[88:91], v60 offset0:20 offset1:241
	v_add_u32_e32 v60, 0x1800, v92
	ds_read2_b64 v[72:75], v60 offset0:14 offset1:235
	v_add_u32_e32 v60, 0x2600, v92
	ds_read_b64 v[98:99], v92 offset:952
	ds_read2_b64 v[60:63], v60 offset0:8 offset1:229
.LBB0_19:
	s_or_b64 exec, exec, s[0:1]
	s_waitcnt lgkmcnt(3)
	v_pk_mul_f32 v[114:115], v[20:21], v[58:59] op_sel:[0,1] op_sel_hi:[1,0]
	s_waitcnt lgkmcnt(2)
	v_pk_mul_f32 v[102:103], v[16:17], v[2:3] op_sel_hi:[1,0]
	v_mov_b32_e32 v104, v3
	v_mov_b32_e32 v114, v115
	s_waitcnt lgkmcnt(1)
	v_pk_mul_f32 v[116:117], v[22:23], v[52:53] op_sel:[0,1] op_sel_hi:[1,0]
	v_pk_mul_f32 v[106:107], v[18:19], v[56:57] op_sel_hi:[1,0]
	v_mov_b32_e32 v108, v57
	v_pk_mul_f32 v[110:111], v[20:21], v[58:59]
	v_mov_b32_e32 v112, v21
	v_pk_fma_f32 v[20:21], v[20:21], v[58:59], v[114:115] op_sel:[0,1,0] op_sel_hi:[1,0,1] neg_lo:[0,0,1] neg_hi:[0,0,1]
	v_mov_b32_e32 v114, v23
	v_mov_b32_e32 v116, v117
	v_pk_fma_f32 v[104:105], v[16:17], v[104:105], v[102:103] op_sel:[0,0,1] op_sel_hi:[1,1,0] neg_lo:[0,0,1] neg_hi:[0,0,1]
	v_pk_fma_f32 v[2:3], v[16:17], v[2:3], v[102:103] op_sel:[0,1,1] op_sel_hi:[1,1,0]
	v_pk_mul_f32 v[112:113], v[112:113], v[58:59] op_sel:[0,1] op_sel_hi:[1,0]
	v_pk_mul_f32 v[58:59], v[22:23], v[52:53]
	v_pk_mul_f32 v[114:115], v[114:115], v[52:53] op_sel:[0,1] op_sel_hi:[1,0]
	v_pk_fma_f32 v[22:23], v[22:23], v[52:53], v[116:117] op_sel:[0,1,0] op_sel_hi:[1,0,1] neg_lo:[0,0,1] neg_hi:[0,0,1]
	v_pk_mul_f32 v[52:53], v[24:25], v[54:55] op_sel_hi:[1,0]
	v_mov_b32_e32 v116, v55
	v_mov_b32_e32 v105, v3
	v_pk_fma_f32 v[2:3], v[18:19], v[108:109], v[106:107] op_sel:[0,0,1] op_sel_hi:[1,1,0] neg_lo:[0,0,1] neg_hi:[0,0,1]
	v_pk_fma_f32 v[16:17], v[18:19], v[56:57], v[106:107] op_sel:[0,1,1] op_sel_hi:[1,1,0]
	s_waitcnt lgkmcnt(0)
	v_pk_mul_f32 v[118:119], v[26:27], v[94:95] op_sel_hi:[1,0]
	v_mov_b32_e32 v120, v95
	v_mov_b32_e32 v3, v17
	v_pk_fma_f32 v[16:17], v[24:25], v[116:117], v[52:53] op_sel:[0,0,1] op_sel_hi:[1,1,0] neg_lo:[0,0,1] neg_hi:[0,0,1]
	v_pk_fma_f32 v[18:19], v[24:25], v[54:55], v[52:53] op_sel:[0,1,1] op_sel_hi:[1,1,0]
	v_pk_fma_f32 v[24:25], v[26:27], v[94:95], v[118:119] op_sel:[0,1,1] op_sel_hi:[1,1,0]
	v_mov_b32_e32 v17, v19
	v_pk_fma_f32 v[18:19], v[26:27], v[120:121], v[118:119] op_sel:[0,0,1] op_sel_hi:[1,1,0] neg_lo:[0,0,1] neg_hi:[0,0,1]
	v_mov_b32_e32 v59, v104
	v_mov_b32_e32 v19, v25
	;; [unrolled: 1-line block ×5, first 2 shown]
	v_pk_add_f32 v[24:25], v[104:105], v[18:19]
	v_pk_add_f32 v[26:27], v[104:105], v[18:19] neg_lo:[0,1] neg_hi:[0,1]
	v_pk_add_f32 v[52:53], v[2:3], v[16:17]
	v_pk_add_f32 v[54:55], v[2:3], v[16:17] neg_lo:[0,1] neg_hi:[0,1]
	v_pk_add_f32 v[18:19], v[58:59], v[114:115]
	v_pk_add_f32 v[2:3], v[110:111], v[112:113]
	v_mov_b32_e32 v23, v18
	v_mov_b32_e32 v21, v2
	v_pk_add_f32 v[16:17], v[22:23], v[20:21] neg_lo:[0,1] neg_hi:[0,1]
	v_mov_b32_e32 v102, v53
	v_mov_b32_e32 v103, v20
	;; [unrolled: 1-line block ×4, first 2 shown]
	v_pk_add_f32 v[20:21], v[102:103], v[20:21]
	v_pk_add_f32 v[22:23], v[2:3], v[18:19]
	v_mov_b32_e32 v56, v16
	v_mov_b32_e32 v57, v27
	v_mov_b32_e32 v58, v54
	v_mov_b32_e32 v59, v17
	s_mov_b32 s6, 0x3f08b237
	v_mov_b32_e32 v18, v22
	v_mov_b32_e32 v103, v21
	s_mov_b32 s24, 0x3d64c772
	v_pk_add_f32 v[56:57], v[56:57], v[58:59] neg_lo:[0,1] neg_hi:[0,1]
	s_mov_b32 s7, 0xbeae86e6
	v_mov_b32_e32 v58, v26
	v_mov_b32_e32 v94, v16
	;; [unrolled: 1-line block ×3, first 2 shown]
	v_pk_add_f32 v[102:103], v[18:19], v[102:103] neg_lo:[0,1] neg_hi:[0,1]
	v_mov_b32_e32 v104, v25
	v_mov_b32_e32 v105, v21
	;; [unrolled: 1-line block ×3, first 2 shown]
	v_pk_add_f32 v[20:21], v[20:21], v[22:23]
	s_mov_b32 s25, 0x3f4a47b2
	v_pk_mul_f32 v[56:57], v[56:57], s[6:7]
	v_pk_add_f32 v[58:59], v[58:59], v[94:95] neg_lo:[0,1] neg_hi:[0,1]
	s_mov_b32 s20, s7
	s_mov_b32 s21, s6
	v_pk_add_f32 v[16:17], v[16:17], v[54:55]
	v_pk_add_f32 v[104:105], v[104:105], v[2:3] neg_lo:[0,1] neg_hi:[0,1]
	v_pk_add_f32 v[0:1], v[0:1], v[20:21]
	s_mov_b32 s22, 0xbf955555
	v_pk_mul_f32 v[22:23], v[102:103], s[24:25]
	s_mov_b32 s26, s25
	s_mov_b32 s27, s24
	v_pk_mul_f32 v[94:95], v[58:59], s[20:21]
	v_pk_add_f32 v[16:17], v[16:17], v[26:27]
	s_mov_b32 s0, 0xbee1c552
	v_pk_mul_f32 v[102:103], v[104:105], s[26:27]
	v_pk_fma_f32 v[20:21], v[20:21], s[22:23], v[0:1] op_sel_hi:[1,0,1]
	v_pk_fma_f32 v[104:105], v[104:105], s[26:27], v[22:23]
	v_pk_fma_f32 v[58:59], v[58:59], s[20:21], v[56:57]
	v_pk_add_f32 v[104:105], v[104:105], v[20:21]
	v_pk_fma_f32 v[58:59], v[16:17], s[0:1], v[58:59] op_sel_hi:[1,0,1]
	v_accvgpr_read_b32 v52, a2
	v_pk_add_f32 v[106:107], v[104:105], v[58:59]
	v_pk_add_f32 v[58:59], v[104:105], v[58:59] neg_lo:[0,1] neg_hi:[0,1]
	v_mov_b32_e32 v104, v106
	v_mov_b32_e32 v105, v59
	;; [unrolled: 1-line block ×4, first 2 shown]
	s_barrier
	ds_write2_b64 v52, v[0:1], v[104:105] offset1:17
	v_pk_add_f32 v[0:1], v[54:55], v[26:27] neg_lo:[0,1] neg_hi:[0,1]
	s_mov_b32 s16, 0xbf5ff5aa
	v_pk_add_f32 v[2:3], v[2:3], v[18:19] neg_lo:[0,1] neg_hi:[0,1]
	s_mov_b32 s18, 0x3f3bfb3b
	v_mov_b32_e32 v18, v102
	v_mov_b32_e32 v19, v23
	v_mov_b32_e32 v24, v94
	v_mov_b32_e32 v25, v57
	v_mov_b32_e32 v23, v103
	v_mov_b32_e32 v57, v95
	v_pk_fma_f32 v[18:19], v[2:3], s[18:19], v[18:19] op_sel_hi:[1,0,1] neg_lo:[1,0,1] neg_hi:[1,0,1]
	v_pk_fma_f32 v[24:25], v[0:1], s[16:17], v[24:25] op_sel_hi:[1,0,1] neg_lo:[1,0,1] neg_hi:[1,0,1]
	;; [unrolled: 1-line block ×4, first 2 shown]
	v_pk_add_f32 v[18:19], v[18:19], v[20:21]
	v_pk_fma_f32 v[24:25], v[16:17], s[0:1], v[24:25] op_sel_hi:[1,0,1]
	v_pk_add_f32 v[2:3], v[2:3], v[20:21]
	v_pk_fma_f32 v[0:1], v[16:17], s[0:1], v[0:1] op_sel_hi:[1,0,1]
	v_pk_add_f32 v[26:27], v[18:19], v[24:25]
	v_pk_add_f32 v[18:19], v[18:19], v[24:25] neg_lo:[0,1] neg_hi:[0,1]
	v_pk_add_f32 v[16:17], v[2:3], v[0:1] neg_lo:[0,1] neg_hi:[0,1]
	v_pk_add_f32 v[0:1], v[2:3], v[0:1]
	v_mov_b32_e32 v100, v30
	v_mov_b32_e32 v101, v30
	v_mov_b32_e32 v30, v31
	v_mov_b32_e32 v96, v44
	v_mov_b32_e32 v97, v44
	v_mov_b32_e32 v44, v45
	v_mov_b32_e32 v86, v46
	v_mov_b32_e32 v87, v46
	v_mov_b32_e32 v46, v47
	v_mov_b32_e32 v84, v40
	v_mov_b32_e32 v85, v40
	v_mov_b32_e32 v40, v41
	v_mov_b32_e32 v82, v42
	v_mov_b32_e32 v83, v42
	v_mov_b32_e32 v42, v43
	v_mov_b32_e32 v80, v36
	v_mov_b32_e32 v81, v36
	v_mov_b32_e32 v36, v37
	v_mov_b32_e32 v78, v38
	v_mov_b32_e32 v79, v38
	v_mov_b32_e32 v38, v39
	v_mov_b32_e32 v76, v32
	v_mov_b32_e32 v77, v32
	v_mov_b32_e32 v32, v33
	v_mov_b32_e32 v70, v34
	v_mov_b32_e32 v71, v34
	v_mov_b32_e32 v34, v35
	v_mov_b32_e32 v68, v48
	v_mov_b32_e32 v69, v48
	v_mov_b32_e32 v48, v49
	v_mov_b32_e32 v66, v50
	v_mov_b32_e32 v67, v50
	v_mov_b32_e32 v50, v51
	v_mov_b32_e32 v64, v28
	v_mov_b32_e32 v65, v28
	v_mov_b32_e32 v28, v29
	v_mov_b32_e32 v24, v26
	v_mov_b32_e32 v25, v19
	v_mov_b32_e32 v2, v16
	v_mov_b32_e32 v3, v1
	v_mov_b32_e32 v1, v17
	v_mov_b32_e32 v19, v27
	v_mov_b32_e32 v59, v107
	ds_write2_b64 v52, v[24:25], v[2:3] offset0:34 offset1:51
	ds_write2_b64 v52, v[0:1], v[18:19] offset0:68 offset1:85
	ds_write_b64 v52, v[58:59] offset:816
	s_and_saveexec_b64 s[28:29], s[2:3]
	s_cbranch_execz .LBB0_21
; %bb.20:
	v_mov_b32_e32 v0, v13
	v_mov_b32_e32 v1, v12
	v_pk_mul_f32 v[52:53], v[0:1], v[72:73]
	v_mov_b32_e32 v2, v15
	v_mov_b32_e32 v3, v14
	;; [unrolled: 1-line block ×4, first 2 shown]
	v_pk_mul_f32 v[22:23], v[0:1], v[22:23]
	v_pk_fma_f32 v[0:1], v[0:1], v[72:73], v[52:53] neg_lo:[1,0,0] neg_hi:[1,0,0]
	v_pk_mul_f32 v[52:53], v[2:3], v[74:75]
	v_pk_mul_f32 v[18:19], v[10:11], v[62:63] op_sel_hi:[1,0]
	v_mov_b32_e32 v20, v75
	v_mov_b32_e32 v52, v53
	v_pk_mul_f32 v[16:17], v[4:5], v[88:89] op_sel_hi:[1,0]
	v_pk_mul_f32 v[20:21], v[2:3], v[20:21]
	v_pk_fma_f32 v[2:3], v[2:3], v[74:75], v[52:53] neg_lo:[1,0,0] neg_hi:[1,0,0]
	v_pk_fma_f32 v[52:53], v[10:11], v[62:63], v[18:19] op_sel:[0,1,1] op_sel_hi:[1,1,0] neg_lo:[0,0,1] neg_hi:[0,0,1]
	v_pk_fma_f32 v[10:11], v[10:11], v[62:63], v[18:19] op_sel:[0,1,1] op_sel_hi:[1,1,0]
	v_pk_mul_f32 v[26:27], v[8:9], v[60:61] op_sel_hi:[1,0]
	v_mov_b32_e32 v53, v11
	v_pk_fma_f32 v[10:11], v[4:5], v[88:89], v[16:17] op_sel:[0,1,1] op_sel_hi:[1,1,0] neg_lo:[0,0,1] neg_hi:[0,0,1]
	v_pk_fma_f32 v[4:5], v[4:5], v[88:89], v[16:17] op_sel:[0,1,1] op_sel_hi:[1,1,0]
	v_pk_mul_f32 v[24:25], v[6:7], v[90:91] op_sel_hi:[1,0]
	v_mov_b32_e32 v11, v5
	v_pk_fma_f32 v[4:5], v[8:9], v[60:61], v[26:27] op_sel:[0,1,1] op_sel_hi:[1,1,0] neg_lo:[0,0,1] neg_hi:[0,0,1]
	v_pk_fma_f32 v[8:9], v[8:9], v[60:61], v[26:27] op_sel:[0,1,1] op_sel_hi:[1,1,0]
	v_pk_mul_f32 v[14:15], v[14:15], v[74:75]
	v_pk_mul_f32 v[12:13], v[12:13], v[72:73]
	v_mov_b32_e32 v5, v9
	v_pk_fma_f32 v[8:9], v[6:7], v[90:91], v[24:25] op_sel:[0,1,1] op_sel_hi:[1,1,0] neg_lo:[0,0,1] neg_hi:[0,0,1]
	v_pk_fma_f32 v[6:7], v[6:7], v[90:91], v[24:25] op_sel:[0,1,1] op_sel_hi:[1,1,0]
	v_mov_b32_e32 v15, v52
	v_mov_b32_e32 v9, v7
	;; [unrolled: 1-line block ×5, first 2 shown]
	v_mul_u32_u24_e32 v1, 0x77, v180
	v_pk_add_f32 v[6:7], v[52:53], v[10:11]
	v_pk_add_f32 v[16:17], v[4:5], v[8:9]
	v_pk_add_f32 v[18:19], v[10:11], v[52:53] neg_lo:[0,1] neg_hi:[0,1]
	v_pk_add_f32 v[24:25], v[8:9], v[4:5] neg_lo:[0,1] neg_hi:[0,1]
	v_pk_add_f32 v[10:11], v[14:15], v[20:21]
	v_pk_add_f32 v[4:5], v[12:13], v[22:23]
	v_add_lshl_u32 v56, v1, v181, 3
	v_mov_b32_e32 v3, v10
	v_mov_b32_e32 v1, v4
	v_pk_add_f32 v[8:9], v[2:3], v[0:1] neg_lo:[0,1] neg_hi:[0,1]
	v_mov_b32_e32 v23, v19
	v_mov_b32_e32 v14, v8
	v_pk_add_f32 v[20:21], v[8:9], v[24:25]
	v_mov_b32_e32 v22, v8
	v_mov_b32_e32 v8, v24
	;; [unrolled: 1-line block ×3, first 2 shown]
	v_pk_add_f32 v[8:9], v[22:23], v[8:9] neg_lo:[0,1] neg_hi:[0,1]
	v_mov_b32_e32 v22, v17
	v_mov_b32_e32 v23, v0
	;; [unrolled: 1-line block ×4, first 2 shown]
	v_pk_add_f32 v[0:1], v[22:23], v[0:1]
	v_pk_add_f32 v[2:3], v[4:5], v[10:11]
	v_mov_b32_e32 v12, v18
	v_pk_add_f32 v[22:23], v[0:1], v[2:3]
	v_mov_b32_e32 v0, v7
	v_mov_b32_e32 v3, v5
	v_pk_add_f32 v[52:53], v[0:1], v[2:3] neg_lo:[0,1] neg_hi:[0,1]
	v_mov_b32_e32 v3, v11
	v_mov_b32_e32 v0, v17
	;; [unrolled: 1-line block ×3, first 2 shown]
	v_pk_add_f32 v[0:1], v[2:3], v[0:1] neg_lo:[0,1] neg_hi:[0,1]
	v_pk_add_f32 v[12:13], v[12:13], v[14:15] neg_lo:[0,1] neg_hi:[0,1]
	v_pk_mul_f32 v[8:9], v[8:9], s[6:7]
	v_pk_add_f32 v[26:27], v[98:99], v[22:23]
	v_pk_mul_f32 v[0:1], v[0:1], s[24:25]
	v_pk_mul_f32 v[14:15], v[12:13], s[20:21]
	v_pk_add_f32 v[20:21], v[20:21], v[18:19]
	v_pk_fma_f32 v[12:13], v[12:13], s[20:21], v[8:9]
	v_pk_fma_f32 v[2:3], v[52:53], s[26:27], v[0:1]
	v_pk_fma_f32 v[22:23], v[22:23], s[22:23], v[26:27] op_sel_hi:[1,0,1]
	v_pk_fma_f32 v[12:13], v[20:21], s[0:1], v[12:13] op_sel_hi:[1,0,1]
	v_pk_add_f32 v[2:3], v[2:3], v[22:23]
	v_pk_mul_f32 v[54:55], v[52:53], s[26:27]
	v_pk_add_f32 v[52:53], v[2:3], v[12:13]
	v_pk_add_f32 v[2:3], v[2:3], v[12:13] neg_lo:[0,1] neg_hi:[0,1]
	v_mov_b32_e32 v12, v52
	v_mov_b32_e32 v13, v3
	;; [unrolled: 1-line block ×4, first 2 shown]
	ds_write2_b64 v56, v[26:27], v[12:13] offset1:17
	v_pk_add_f32 v[12:13], v[24:25], v[18:19] neg_lo:[0,1] neg_hi:[0,1]
	v_mov_b32_e32 v18, v14
	v_mov_b32_e32 v19, v9
	v_pk_add_f32 v[4:5], v[4:5], v[10:11] neg_lo:[0,1] neg_hi:[0,1]
	v_mov_b32_e32 v6, v54
	v_mov_b32_e32 v7, v1
	;; [unrolled: 1-line block ×4, first 2 shown]
	v_pk_fma_f32 v[18:19], v[12:13], s[16:17], v[18:19] op_sel_hi:[1,0,1] neg_lo:[1,0,1] neg_hi:[1,0,1]
	v_pk_fma_f32 v[6:7], v[4:5], s[18:19], v[6:7] op_sel_hi:[1,0,1] neg_lo:[1,0,1] neg_hi:[1,0,1]
	;; [unrolled: 1-line block ×4, first 2 shown]
	v_pk_fma_f32 v[18:19], v[20:21], s[0:1], v[18:19] op_sel_hi:[1,0,1]
	v_pk_add_f32 v[6:7], v[6:7], v[22:23]
	v_pk_fma_f32 v[8:9], v[20:21], s[0:1], v[8:9] op_sel_hi:[1,0,1]
	v_pk_add_f32 v[0:1], v[0:1], v[22:23]
	v_pk_add_f32 v[10:11], v[6:7], v[18:19]
	v_pk_add_f32 v[6:7], v[6:7], v[18:19] neg_lo:[0,1] neg_hi:[0,1]
	v_pk_add_f32 v[4:5], v[0:1], v[8:9] neg_lo:[0,1] neg_hi:[0,1]
	v_pk_add_f32 v[0:1], v[0:1], v[8:9]
	v_mov_b32_e32 v16, v10
	v_mov_b32_e32 v17, v7
	;; [unrolled: 1-line block ×7, first 2 shown]
	ds_write2_b64 v56, v[16:17], v[8:9] offset0:34 offset1:51
	ds_write2_b64 v56, v[0:1], v[6:7] offset0:68 offset1:85
	ds_write_b64 v56, v[2:3] offset:816
.LBB0_21:
	s_or_b64 exec, exec, s[28:29]
	v_add_u32_e32 v56, 0x800, v92
	s_waitcnt lgkmcnt(0)
	s_barrier
	ds_read2_b64 v[6:9], v56 offset0:101 offset1:220
	v_add_u32_e32 v55, 0x1000, v92
	ds_read2_b64 v[10:13], v55 offset0:83 offset1:202
	v_add_u32_e32 v54, 0x1800, v92
	ds_read2_b64 v[14:17], v54 offset0:65 offset1:184
	s_waitcnt lgkmcnt(2)
	v_pk_mul_f32 v[0:1], v[30:31], v[8:9]
	v_add_u32_e32 v53, 0x2000, v92
	v_pk_fma_f32 v[26:27], v[100:101], v[8:9], v[0:1] op_sel:[0,0,1] op_sel_hi:[1,1,0]
	v_pk_fma_f32 v[0:1], v[100:101], v[8:9], v[0:1] op_sel:[0,0,1] op_sel_hi:[1,1,0] neg_lo:[0,0,1] neg_hi:[0,0,1]
	ds_read2_b64 v[18:21], v53 offset0:47 offset1:166
	v_mov_b32_e32 v27, v1
	s_waitcnt lgkmcnt(2)
	v_pk_mul_f32 v[0:1], v[44:45], v[10:11]
	v_add_u32_e32 v52, 0x2800, v92
	v_pk_fma_f32 v[30:31], v[96:97], v[10:11], v[0:1] op_sel:[0,0,1] op_sel_hi:[1,1,0]
	v_pk_fma_f32 v[0:1], v[96:97], v[10:11], v[0:1] op_sel:[0,0,1] op_sel_hi:[1,1,0] neg_lo:[0,0,1] neg_hi:[0,0,1]
	ds_read2_b64 v[22:25], v52 offset0:29 offset1:148
	v_mov_b32_e32 v31, v1
	v_pk_mul_f32 v[0:1], v[46:47], v[12:13]
	ds_read2_b64 v[2:5], v92 offset0:119 offset1:238
	v_pk_fma_f32 v[44:45], v[86:87], v[12:13], v[0:1] op_sel:[0,0,1] op_sel_hi:[1,1,0]
	v_pk_fma_f32 v[0:1], v[86:87], v[12:13], v[0:1] op_sel:[0,0,1] op_sel_hi:[1,1,0] neg_lo:[0,0,1] neg_hi:[0,0,1]
	s_movk_i32 s3, 0x2000
	v_mov_b32_e32 v45, v1
	s_waitcnt lgkmcnt(3)
	v_pk_mul_f32 v[0:1], v[40:41], v[14:15]
	s_mov_b32 s2, 0xbeedf032
	v_pk_fma_f32 v[40:41], v[84:85], v[14:15], v[0:1] op_sel:[0,0,1] op_sel_hi:[1,1,0]
	v_pk_fma_f32 v[0:1], v[84:85], v[14:15], v[0:1] op_sel:[0,0,1] op_sel_hi:[1,1,0] neg_lo:[0,0,1] neg_hi:[0,0,1]
	s_mov_b32 s0, 0x3f62ad3f
	v_mov_b32_e32 v41, v1
	v_pk_mul_f32 v[0:1], v[42:43], v[16:17]
	s_mov_b32 s24, 0xbf52af12
	v_pk_fma_f32 v[42:43], v[82:83], v[16:17], v[0:1] op_sel:[0,0,1] op_sel_hi:[1,1,0]
	v_pk_fma_f32 v[0:1], v[82:83], v[16:17], v[0:1] op_sel:[0,0,1] op_sel_hi:[1,1,0] neg_lo:[0,0,1] neg_hi:[0,0,1]
	s_waitcnt lgkmcnt(0)
	v_pk_mul_f32 v[16:17], v[48:49], v[2:3]
	v_mov_b32_e32 v43, v1
	v_pk_mul_f32 v[0:1], v[36:37], v[18:19]
	s_mov_b32 s34, 0xbf7e222b
	v_pk_fma_f32 v[14:15], v[80:81], v[18:19], v[0:1] op_sel:[0,0,1] op_sel_hi:[1,1,0]
	v_pk_fma_f32 v[0:1], v[80:81], v[18:19], v[0:1] op_sel:[0,0,1] op_sel_hi:[1,1,0] neg_lo:[0,0,1] neg_hi:[0,0,1]
	v_pk_fma_f32 v[18:19], v[68:69], v[2:3], v[16:17] op_sel:[0,0,1] op_sel_hi:[1,1,0]
	v_mov_b32_e32 v15, v1
	v_pk_mul_f32 v[0:1], v[38:39], v[20:21]
	v_pk_fma_f32 v[2:3], v[68:69], v[2:3], v[16:17] op_sel:[0,0,1] op_sel_hi:[1,1,0] neg_lo:[0,0,1] neg_hi:[0,0,1]
	v_pk_fma_f32 v[10:11], v[78:79], v[20:21], v[0:1] op_sel:[0,0,1] op_sel_hi:[1,1,0]
	v_pk_fma_f32 v[0:1], v[78:79], v[20:21], v[0:1] op_sel:[0,0,1] op_sel_hi:[1,1,0] neg_lo:[0,0,1] neg_hi:[0,0,1]
	v_mov_b32_e32 v19, v3
	v_mov_b32_e32 v11, v1
	v_pk_mul_f32 v[0:1], v[32:33], v[22:23]
	v_pk_mul_f32 v[2:3], v[50:51], v[4:5]
	v_pk_fma_f32 v[8:9], v[76:77], v[22:23], v[0:1] op_sel:[0,0,1] op_sel_hi:[1,1,0]
	v_pk_fma_f32 v[0:1], v[76:77], v[22:23], v[0:1] op_sel:[0,0,1] op_sel_hi:[1,1,0] neg_lo:[0,0,1] neg_hi:[0,0,1]
	v_pk_fma_f32 v[16:17], v[66:67], v[4:5], v[2:3] op_sel:[0,0,1] op_sel_hi:[1,1,0]
	v_mov_b32_e32 v9, v1
	v_pk_mul_f32 v[0:1], v[34:35], v[24:25]
	v_pk_fma_f32 v[2:3], v[66:67], v[4:5], v[2:3] op_sel:[0,0,1] op_sel_hi:[1,1,0] neg_lo:[0,0,1] neg_hi:[0,0,1]
	v_pk_fma_f32 v[12:13], v[70:71], v[24:25], v[0:1] op_sel:[0,0,1] op_sel_hi:[1,1,0]
	v_pk_fma_f32 v[0:1], v[70:71], v[24:25], v[0:1] op_sel:[0,0,1] op_sel_hi:[1,1,0] neg_lo:[0,0,1] neg_hi:[0,0,1]
	v_mov_b32_e32 v17, v3
	v_mov_b32_e32 v13, v1
	ds_read_b64 v[0:1], v92
	v_pk_mul_f32 v[2:3], v[28:29], v[6:7]
	v_pk_add_f32 v[48:49], v[18:19], v[12:13] neg_lo:[0,1] neg_hi:[0,1]
	v_pk_fma_f32 v[20:21], v[64:65], v[6:7], v[2:3] op_sel:[0,0,1] op_sel_hi:[1,1,0]
	v_pk_fma_f32 v[2:3], v[64:65], v[6:7], v[2:3] op_sel:[0,0,1] op_sel_hi:[1,1,0] neg_lo:[0,0,1] neg_hi:[0,0,1]
	v_pk_add_f32 v[46:47], v[18:19], v[12:13]
	v_mov_b32_e32 v21, v3
	s_waitcnt lgkmcnt(0)
	v_pk_add_f32 v[2:3], v[0:1], v[18:19]
	v_pk_mul_f32 v[4:5], v[48:49], s[2:3] op_sel_hi:[1,0]
	v_pk_add_f32 v[2:3], v[2:3], v[16:17]
	v_pk_add_f32 v[58:59], v[16:17], v[8:9] neg_lo:[0,1] neg_hi:[0,1]
	v_pk_add_f32 v[2:3], v[2:3], v[20:21]
	v_pk_add_f32 v[50:51], v[16:17], v[8:9]
	;; [unrolled: 1-line block ×3, first 2 shown]
	s_mov_b32 s2, 0x3f116cb1
	v_pk_add_f32 v[2:3], v[2:3], v[30:31]
	v_pk_add_f32 v[62:63], v[20:21], v[10:11] neg_lo:[0,1] neg_hi:[0,1]
	v_pk_add_f32 v[2:3], v[2:3], v[44:45]
	s_movk_i32 s7, 0x1000
	v_pk_add_f32 v[2:3], v[2:3], v[40:41]
	v_pk_add_f32 v[60:61], v[20:21], v[10:11]
	;; [unrolled: 1-line block ×3, first 2 shown]
	s_mov_b32 s6, 0x3df6dbef
	v_pk_add_f32 v[2:3], v[2:3], v[14:15]
	v_pk_add_f32 v[66:67], v[26:27], v[14:15] neg_lo:[0,1] neg_hi:[0,1]
	v_pk_add_f32 v[2:3], v[2:3], v[10:11]
	s_mov_b32 s18, 0xbf6f5d39
	v_pk_add_f32 v[2:3], v[2:3], v[8:9]
	v_pk_mul_f32 v[8:9], v[58:59], s[24:25] op_sel_hi:[1,0]
	v_pk_add_f32 v[28:29], v[2:3], v[12:13]
	v_pk_fma_f32 v[2:3], v[46:47], s[0:1], v[4:5] op_sel:[0,0,1] op_sel_hi:[1,0,0]
	v_pk_fma_f32 v[4:5], v[46:47], s[0:1], v[4:5] op_sel:[0,0,1] op_sel_hi:[1,0,0] neg_lo:[0,0,1] neg_hi:[0,0,1]
	v_mov_b32_e32 v6, v2
	v_mov_b32_e32 v7, v5
	v_pk_add_f32 v[12:13], v[0:1], v[6:7]
	v_pk_fma_f32 v[6:7], v[50:51], s[2:3], v[8:9] op_sel:[0,0,1] op_sel_hi:[1,0,0]
	v_pk_fma_f32 v[8:9], v[50:51], s[2:3], v[8:9] op_sel:[0,0,1] op_sel_hi:[1,0,0] neg_lo:[0,0,1] neg_hi:[0,0,1]
	v_mov_b32_e32 v16, v6
	v_mov_b32_e32 v17, v9
	v_pk_add_f32 v[16:17], v[16:17], v[12:13]
	v_pk_mul_f32 v[12:13], v[62:63], s[34:35] op_sel_hi:[1,0]
	v_pk_add_f32 v[64:65], v[26:27], v[14:15]
	v_pk_fma_f32 v[10:11], v[60:61], s[6:7], v[12:13] op_sel:[0,0,1] op_sel_hi:[1,0,0]
	v_pk_fma_f32 v[12:13], v[60:61], s[6:7], v[12:13] op_sel:[0,0,1] op_sel_hi:[1,0,0] neg_lo:[0,0,1] neg_hi:[0,0,1]
	v_mov_b32_e32 v18, v10
	v_mov_b32_e32 v19, v13
	v_pk_add_f32 v[18:19], v[18:19], v[16:17]
	s_mov_b32 s16, 0xbeb58ec6
	v_pk_mul_f32 v[16:17], v[66:67], s[18:19] op_sel_hi:[1,0]
	v_pk_add_f32 v[68:69], v[30:31], v[42:43]
	v_pk_fma_f32 v[14:15], v[64:65], s[16:17], v[16:17] op_sel:[0,0,1] op_sel_hi:[1,0,0]
	v_pk_fma_f32 v[16:17], v[64:65], s[16:17], v[16:17] op_sel:[0,0,1] op_sel_hi:[1,0,0] neg_lo:[0,0,1] neg_hi:[0,0,1]
	v_mov_b32_e32 v20, v14
	v_mov_b32_e32 v21, v17
	v_pk_add_f32 v[42:43], v[30:31], v[42:43] neg_lo:[0,1] neg_hi:[0,1]
	s_mov_b32 s22, 0xbf29c268
	v_pk_add_f32 v[22:23], v[20:21], v[18:19]
	s_mov_b32 s20, 0xbf3f9e67
	v_pk_mul_f32 v[20:21], v[42:43], s[22:23] op_sel_hi:[1,0]
	v_pk_add_f32 v[70:71], v[44:45], v[40:41]
	v_pk_fma_f32 v[18:19], v[68:69], s[20:21], v[20:21] op_sel:[0,0,1] op_sel_hi:[1,0,0]
	v_pk_fma_f32 v[20:21], v[68:69], s[20:21], v[20:21] op_sel:[0,0,1] op_sel_hi:[1,0,0] neg_lo:[0,0,1] neg_hi:[0,0,1]
	v_mov_b32_e32 v24, v18
	v_mov_b32_e32 v25, v21
	v_pk_add_f32 v[44:45], v[44:45], v[40:41] neg_lo:[0,1] neg_hi:[0,1]
	s_mov_b32 s28, 0xbe750f2a
	v_pk_add_f32 v[26:27], v[24:25], v[22:23]
	s_mov_b32 s26, 0xbf788fa5
	v_pk_mul_f32 v[24:25], v[44:45], s[28:29] op_sel_hi:[1,0]
	v_pk_mul_f32 v[32:33], v[58:59], s[18:19] op_sel_hi:[1,0]
	v_pk_fma_f32 v[22:23], v[70:71], s[26:27], v[24:25] op_sel:[0,0,1] op_sel_hi:[1,0,0]
	v_pk_fma_f32 v[24:25], v[70:71], s[26:27], v[24:25] op_sel:[0,0,1] op_sel_hi:[1,0,0] neg_lo:[0,0,1] neg_hi:[0,0,1]
	v_mov_b32_e32 v30, v22
	v_mov_b32_e32 v31, v25
	v_pk_add_f32 v[26:27], v[30:31], v[26:27]
	ds_write_b64 v92, v[28:29]
	ds_write_b64 v92, v[26:27] offset:952
	v_pk_mul_f32 v[28:29], v[48:49], s[24:25] op_sel_hi:[1,0]
	s_mov_b32 s38, 0x3f29c268
	v_pk_fma_f32 v[26:27], v[46:47], s[2:3], v[28:29] op_sel:[0,0,1] op_sel_hi:[1,0,0]
	v_pk_fma_f32 v[28:29], v[46:47], s[2:3], v[28:29] op_sel:[0,0,1] op_sel_hi:[1,0,0] neg_lo:[0,0,1] neg_hi:[0,0,1]
	v_mov_b32_e32 v30, v26
	v_mov_b32_e32 v31, v29
	v_pk_add_f32 v[34:35], v[0:1], v[30:31]
	v_pk_fma_f32 v[30:31], v[50:51], s[16:17], v[32:33] op_sel:[0,0,1] op_sel_hi:[1,0,0]
	v_pk_fma_f32 v[32:33], v[50:51], s[16:17], v[32:33] op_sel:[0,0,1] op_sel_hi:[1,0,0] neg_lo:[0,0,1] neg_hi:[0,0,1]
	v_mov_b32_e32 v36, v30
	v_mov_b32_e32 v37, v33
	v_pk_add_f32 v[38:39], v[36:37], v[34:35]
	v_pk_mul_f32 v[36:37], v[62:63], s[28:29] op_sel_hi:[1,0]
	s_mov_b32 s30, 0x3f7e222b
	v_pk_fma_f32 v[34:35], v[60:61], s[26:27], v[36:37] op_sel:[0,0,1] op_sel_hi:[1,0,0]
	v_pk_fma_f32 v[36:37], v[60:61], s[26:27], v[36:37] op_sel:[0,0,1] op_sel_hi:[1,0,0] neg_lo:[0,0,1] neg_hi:[0,0,1]
	v_mov_b32_e32 v40, v34
	v_mov_b32_e32 v41, v37
	v_pk_add_f32 v[72:73], v[40:41], v[38:39]
	v_pk_mul_f32 v[40:41], v[66:67], s[38:39] op_sel_hi:[1,0]
	s_mov_b32 s36, 0x3eedf032
	v_pk_fma_f32 v[38:39], v[64:65], s[20:21], v[40:41] op_sel:[0,0,1] op_sel_hi:[1,0,0]
	v_pk_fma_f32 v[40:41], v[64:65], s[20:21], v[40:41] op_sel:[0,0,1] op_sel_hi:[1,0,0] neg_lo:[0,0,1] neg_hi:[0,0,1]
	v_mov_b32_e32 v74, v38
	v_mov_b32_e32 v75, v41
	v_pk_add_f32 v[72:73], v[74:75], v[72:73]
	v_pk_mul_f32 v[74:75], v[42:43], s[30:31] op_sel_hi:[1,0]
	v_pk_mul_f32 v[88:89], v[58:59], s[28:29] op_sel_hi:[1,0]
	v_pk_fma_f32 v[76:77], v[68:69], s[6:7], v[74:75] op_sel:[0,0,1] op_sel_hi:[1,0,0]
	v_pk_fma_f32 v[74:75], v[68:69], s[6:7], v[74:75] op_sel:[0,0,1] op_sel_hi:[1,0,0] neg_lo:[0,0,1] neg_hi:[0,0,1]
	v_mov_b32_e32 v78, v76
	v_mov_b32_e32 v79, v75
	v_pk_add_f32 v[72:73], v[78:79], v[72:73]
	v_pk_mul_f32 v[78:79], v[44:45], s[36:37] op_sel_hi:[1,0]
	v_pk_fma_f32 v[90:91], v[50:51], s[26:27], v[88:89] op_sel:[0,0,1] op_sel_hi:[1,0,0]
	v_pk_fma_f32 v[80:81], v[70:71], s[0:1], v[78:79] op_sel:[0,0,1] op_sel_hi:[1,0,0]
	v_pk_fma_f32 v[78:79], v[70:71], s[0:1], v[78:79] op_sel:[0,0,1] op_sel_hi:[1,0,0] neg_lo:[0,0,1] neg_hi:[0,0,1]
	v_mov_b32_e32 v82, v80
	v_mov_b32_e32 v83, v79
	v_pk_add_f32 v[72:73], v[82:83], v[72:73]
	v_pk_mul_f32 v[82:83], v[48:49], s[34:35] op_sel_hi:[1,0]
	v_pk_fma_f32 v[88:89], v[50:51], s[26:27], v[88:89] op_sel:[0,0,1] op_sel_hi:[1,0,0] neg_lo:[0,0,1] neg_hi:[0,0,1]
	v_pk_fma_f32 v[84:85], v[46:47], s[6:7], v[82:83] op_sel:[0,0,1] op_sel_hi:[1,0,0]
	v_pk_fma_f32 v[82:83], v[46:47], s[6:7], v[82:83] op_sel:[0,0,1] op_sel_hi:[1,0,0] neg_lo:[0,0,1] neg_hi:[0,0,1]
	v_mov_b32_e32 v86, v84
	v_mov_b32_e32 v87, v83
	v_pk_add_f32 v[86:87], v[0:1], v[86:87]
	v_mov_b32_e32 v94, v90
	v_mov_b32_e32 v95, v89
	s_mov_b32 s40, 0x3f6f5d39
	v_pk_add_f32 v[86:87], v[94:95], v[86:87]
	v_pk_mul_f32 v[94:95], v[62:63], s[40:41] op_sel_hi:[1,0]
	v_add_u32_e32 v2, 0x400, v92
	v_pk_fma_f32 v[96:97], v[60:61], s[16:17], v[94:95] op_sel:[0,0,1] op_sel_hi:[1,0,0]
	v_pk_fma_f32 v[94:95], v[60:61], s[16:17], v[94:95] op_sel:[0,0,1] op_sel_hi:[1,0,0] neg_lo:[0,0,1] neg_hi:[0,0,1]
	v_mov_b32_e32 v98, v96
	v_mov_b32_e32 v99, v95
	v_pk_add_f32 v[86:87], v[98:99], v[86:87]
	v_pk_mul_f32 v[98:99], v[66:67], s[36:37] op_sel_hi:[1,0]
	v_pk_mul_f32 v[112:113], v[58:59], s[38:39] op_sel_hi:[1,0]
	v_pk_fma_f32 v[100:101], v[64:65], s[0:1], v[98:99] op_sel:[0,0,1] op_sel_hi:[1,0,0]
	v_pk_fma_f32 v[98:99], v[64:65], s[0:1], v[98:99] op_sel:[0,0,1] op_sel_hi:[1,0,0] neg_lo:[0,0,1] neg_hi:[0,0,1]
	v_mov_b32_e32 v102, v100
	v_mov_b32_e32 v103, v99
	v_pk_add_f32 v[86:87], v[102:103], v[86:87]
	v_pk_mul_f32 v[102:103], v[42:43], s[24:25] op_sel_hi:[1,0]
	v_pk_fma_f32 v[114:115], v[50:51], s[20:21], v[112:113] op_sel:[0,0,1] op_sel_hi:[1,0,0]
	v_pk_fma_f32 v[104:105], v[68:69], s[2:3], v[102:103] op_sel:[0,0,1] op_sel_hi:[1,0,0]
	v_pk_fma_f32 v[102:103], v[68:69], s[2:3], v[102:103] op_sel:[0,0,1] op_sel_hi:[1,0,0] neg_lo:[0,0,1] neg_hi:[0,0,1]
	v_mov_b32_e32 v106, v104
	v_mov_b32_e32 v107, v103
	v_pk_add_f32 v[86:87], v[106:107], v[86:87]
	v_pk_mul_f32 v[106:107], v[44:45], s[22:23] op_sel_hi:[1,0]
	v_pk_fma_f32 v[112:113], v[50:51], s[20:21], v[112:113] op_sel:[0,0,1] op_sel_hi:[1,0,0] neg_lo:[0,0,1] neg_hi:[0,0,1]
	v_pk_fma_f32 v[108:109], v[70:71], s[20:21], v[106:107] op_sel:[0,0,1] op_sel_hi:[1,0,0]
	v_pk_fma_f32 v[106:107], v[70:71], s[20:21], v[106:107] op_sel:[0,0,1] op_sel_hi:[1,0,0] neg_lo:[0,0,1] neg_hi:[0,0,1]
	v_mov_b32_e32 v110, v108
	v_mov_b32_e32 v111, v107
	v_pk_add_f32 v[86:87], v[110:111], v[86:87]
	ds_write2_b64 v2, v[72:73], v[86:87] offset0:110 offset1:229
	v_pk_mul_f32 v[72:73], v[48:49], s[18:19] op_sel_hi:[1,0]
	v_mov_b32_e32 v116, v114
	v_pk_fma_f32 v[86:87], v[46:47], s[16:17], v[72:73] op_sel:[0,0,1] op_sel_hi:[1,0,0]
	v_pk_fma_f32 v[72:73], v[46:47], s[16:17], v[72:73] op_sel:[0,0,1] op_sel_hi:[1,0,0] neg_lo:[0,0,1] neg_hi:[0,0,1]
	v_mov_b32_e32 v110, v86
	v_mov_b32_e32 v111, v73
	v_pk_add_f32 v[110:111], v[0:1], v[110:111]
	v_mov_b32_e32 v117, v113
	v_pk_add_f32 v[110:111], v[116:117], v[110:111]
	v_pk_mul_f32 v[116:117], v[62:63], s[36:37] op_sel_hi:[1,0]
	s_mov_b32 s38, 0x3f52af12
	v_pk_fma_f32 v[118:119], v[60:61], s[0:1], v[116:117] op_sel:[0,0,1] op_sel_hi:[1,0,0]
	v_pk_fma_f32 v[116:117], v[60:61], s[0:1], v[116:117] op_sel:[0,0,1] op_sel_hi:[1,0,0] neg_lo:[0,0,1] neg_hi:[0,0,1]
	v_mov_b32_e32 v120, v118
	v_mov_b32_e32 v121, v117
	v_pk_add_f32 v[110:111], v[120:121], v[110:111]
	v_pk_mul_f32 v[120:121], v[66:67], s[34:35] op_sel_hi:[1,0]
	s_mov_b32 s34, 0x3e750f2a
	v_pk_fma_f32 v[122:123], v[64:65], s[6:7], v[120:121] op_sel:[0,0,1] op_sel_hi:[1,0,0]
	v_pk_fma_f32 v[120:121], v[64:65], s[6:7], v[120:121] op_sel:[0,0,1] op_sel_hi:[1,0,0] neg_lo:[0,0,1] neg_hi:[0,0,1]
	v_mov_b32_e32 v124, v122
	v_mov_b32_e32 v125, v121
	v_pk_add_f32 v[110:111], v[124:125], v[110:111]
	v_pk_mul_f32 v[124:125], v[42:43], s[34:35] op_sel_hi:[1,0]
	v_pk_mul_f32 v[138:139], v[58:59], s[30:31] op_sel_hi:[1,0]
	v_pk_fma_f32 v[126:127], v[68:69], s[26:27], v[124:125] op_sel:[0,0,1] op_sel_hi:[1,0,0]
	v_pk_fma_f32 v[124:125], v[68:69], s[26:27], v[124:125] op_sel:[0,0,1] op_sel_hi:[1,0,0] neg_lo:[0,0,1] neg_hi:[0,0,1]
	v_mov_b32_e32 v128, v126
	v_mov_b32_e32 v129, v125
	v_pk_add_f32 v[110:111], v[128:129], v[110:111]
	v_pk_mul_f32 v[128:129], v[44:45], s[38:39] op_sel_hi:[1,0]
	v_pk_fma_f32 v[140:141], v[50:51], s[6:7], v[138:139] op_sel:[0,0,1] op_sel_hi:[1,0,0]
	v_pk_fma_f32 v[130:131], v[70:71], s[2:3], v[128:129] op_sel:[0,0,1] op_sel_hi:[1,0,0]
	v_pk_fma_f32 v[128:129], v[70:71], s[2:3], v[128:129] op_sel:[0,0,1] op_sel_hi:[1,0,0] neg_lo:[0,0,1] neg_hi:[0,0,1]
	v_mov_b32_e32 v132, v130
	v_mov_b32_e32 v133, v129
	v_pk_add_f32 v[110:111], v[132:133], v[110:111]
	v_pk_mul_f32 v[132:133], v[48:49], s[22:23] op_sel_hi:[1,0]
	v_pk_fma_f32 v[138:139], v[50:51], s[6:7], v[138:139] op_sel:[0,0,1] op_sel_hi:[1,0,0] neg_lo:[0,0,1] neg_hi:[0,0,1]
	v_pk_fma_f32 v[134:135], v[46:47], s[20:21], v[132:133] op_sel:[0,0,1] op_sel_hi:[1,0,0]
	v_pk_fma_f32 v[132:133], v[46:47], s[20:21], v[132:133] op_sel:[0,0,1] op_sel_hi:[1,0,0] neg_lo:[0,0,1] neg_hi:[0,0,1]
	v_mov_b32_e32 v136, v134
	v_mov_b32_e32 v137, v133
	v_pk_add_f32 v[136:137], v[0:1], v[136:137]
	v_mov_b32_e32 v142, v140
	v_mov_b32_e32 v143, v139
	v_pk_add_f32 v[136:137], v[142:143], v[136:137]
	v_pk_mul_f32 v[142:143], v[62:63], s[24:25] op_sel_hi:[1,0]
	v_add_u32_e32 v6, 0xc00, v92
	v_pk_fma_f32 v[144:145], v[60:61], s[2:3], v[142:143] op_sel:[0,0,1] op_sel_hi:[1,0,0]
	v_pk_fma_f32 v[142:143], v[60:61], s[2:3], v[142:143] op_sel:[0,0,1] op_sel_hi:[1,0,0] neg_lo:[0,0,1] neg_hi:[0,0,1]
	v_mov_b32_e32 v146, v144
	v_mov_b32_e32 v147, v143
	v_pk_add_f32 v[136:137], v[146:147], v[136:137]
	v_pk_mul_f32 v[146:147], v[66:67], s[34:35] op_sel_hi:[1,0]
	v_pk_mul_f32 v[48:49], v[48:49], s[28:29] op_sel_hi:[1,0]
	v_pk_fma_f32 v[148:149], v[64:65], s[26:27], v[146:147] op_sel:[0,0,1] op_sel_hi:[1,0,0]
	v_pk_fma_f32 v[146:147], v[64:65], s[26:27], v[146:147] op_sel:[0,0,1] op_sel_hi:[1,0,0] neg_lo:[0,0,1] neg_hi:[0,0,1]
	v_mov_b32_e32 v150, v148
	v_mov_b32_e32 v151, v147
	v_pk_add_f32 v[136:137], v[150:151], v[136:137]
	v_pk_mul_f32 v[150:151], v[42:43], s[36:37] op_sel_hi:[1,0]
	v_pk_mul_f32 v[58:59], v[58:59], s[36:37] op_sel_hi:[1,0]
	;; [unrolled: 7-line block ×3, first 2 shown]
	v_pk_fma_f32 v[156:157], v[70:71], s[16:17], v[154:155] op_sel:[0,0,1] op_sel_hi:[1,0,0]
	v_pk_fma_f32 v[154:155], v[70:71], s[16:17], v[154:155] op_sel:[0,0,1] op_sel_hi:[1,0,0] neg_lo:[0,0,1] neg_hi:[0,0,1]
	v_mov_b32_e32 v158, v156
	v_mov_b32_e32 v159, v155
	v_pk_add_f32 v[136:137], v[158:159], v[136:137]
	ds_write2_b64 v6, v[110:111], v[136:137] offset0:92 offset1:211
	v_pk_fma_f32 v[110:111], v[46:47], s[26:27], v[48:49] op_sel:[0,0,1] op_sel_hi:[1,0,0]
	v_pk_fma_f32 v[46:47], v[46:47], s[26:27], v[48:49] op_sel:[0,0,1] op_sel_hi:[1,0,0] neg_lo:[0,0,1] neg_hi:[0,0,1]
	v_mov_b32_e32 v48, v110
	v_mov_b32_e32 v49, v47
	v_pk_fma_f32 v[136:137], v[50:51], s[0:1], v[58:59] op_sel:[0,0,1] op_sel_hi:[1,0,0]
	v_pk_fma_f32 v[50:51], v[50:51], s[0:1], v[58:59] op_sel:[0,0,1] op_sel_hi:[1,0,0] neg_lo:[0,0,1] neg_hi:[0,0,1]
	v_pk_add_f32 v[48:49], v[0:1], v[48:49]
	v_mov_b32_e32 v58, v136
	v_mov_b32_e32 v59, v51
	v_pk_add_f32 v[48:49], v[58:59], v[48:49]
	v_pk_mul_f32 v[58:59], v[62:63], s[22:23] op_sel_hi:[1,0]
	v_mov_b32_e32 v47, v111
	v_pk_fma_f32 v[62:63], v[60:61], s[20:21], v[58:59] op_sel:[0,0,1] op_sel_hi:[1,0,0]
	v_pk_fma_f32 v[58:59], v[60:61], s[20:21], v[58:59] op_sel:[0,0,1] op_sel_hi:[1,0,0] neg_lo:[0,0,1] neg_hi:[0,0,1]
	v_mov_b32_e32 v60, v62
	v_mov_b32_e32 v61, v59
	v_pk_add_f32 v[48:49], v[60:61], v[48:49]
	v_pk_mul_f32 v[60:61], v[66:67], s[38:39] op_sel_hi:[1,0]
	v_pk_add_f32 v[46:47], v[0:1], v[46:47]
	v_pk_fma_f32 v[66:67], v[64:65], s[2:3], v[60:61] op_sel:[0,0,1] op_sel_hi:[1,0,0]
	v_pk_fma_f32 v[60:61], v[64:65], s[2:3], v[60:61] op_sel:[0,0,1] op_sel_hi:[1,0,0] neg_lo:[0,0,1] neg_hi:[0,0,1]
	v_mov_b32_e32 v64, v66
	v_mov_b32_e32 v65, v61
	;; [unrolled: 1-line block ×3, first 2 shown]
	v_pk_add_f32 v[48:49], v[64:65], v[48:49]
	v_pk_fma_f32 v[64:65], v[68:69], s[16:17], v[42:43] op_sel:[0,0,1] op_sel_hi:[1,0,0]
	v_pk_fma_f32 v[42:43], v[68:69], s[16:17], v[42:43] op_sel:[0,0,1] op_sel_hi:[1,0,0] neg_lo:[0,0,1] neg_hi:[0,0,1]
	v_pk_add_f32 v[46:47], v[50:51], v[46:47]
	v_mov_b32_e32 v59, v63
	v_mov_b32_e32 v68, v64
	;; [unrolled: 1-line block ×3, first 2 shown]
	v_pk_mul_f32 v[44:45], v[44:45], s[30:31] op_sel_hi:[1,0]
	v_pk_add_f32 v[46:47], v[58:59], v[46:47]
	v_mov_b32_e32 v61, v67
	v_pk_add_f32 v[48:49], v[68:69], v[48:49]
	v_pk_fma_f32 v[68:69], v[70:71], s[6:7], v[44:45] op_sel:[0,0,1] op_sel_hi:[1,0,0]
	v_pk_fma_f32 v[44:45], v[70:71], s[6:7], v[44:45] op_sel:[0,0,1] op_sel_hi:[1,0,0] neg_lo:[0,0,1] neg_hi:[0,0,1]
	v_pk_add_f32 v[46:47], v[60:61], v[46:47]
	v_mov_b32_e32 v43, v65
	v_mov_b32_e32 v70, v68
	;; [unrolled: 1-line block ×3, first 2 shown]
	v_pk_add_f32 v[42:43], v[42:43], v[46:47]
	v_mov_b32_e32 v45, v69
	v_pk_add_f32 v[48:49], v[70:71], v[48:49]
	v_pk_add_f32 v[42:43], v[44:45], v[42:43]
	v_add_u32_e32 v2, 0x1400, v92
	v_mov_b32_e32 v133, v135
	v_mov_b32_e32 v73, v87
	ds_write2_b64 v2, v[48:49], v[42:43] offset0:74 offset1:193
	v_pk_add_f32 v[42:43], v[0:1], v[132:133]
	v_mov_b32_e32 v139, v141
	v_pk_add_f32 v[44:45], v[0:1], v[72:73]
	v_mov_b32_e32 v113, v115
	;; [unrolled: 2-line block ×10, first 2 shown]
	v_pk_add_f32 v[42:43], v[154:155], v[42:43]
	v_pk_add_f32 v[44:45], v[128:129], v[44:45]
	v_add_u32_e32 v2, 0x1c00, v92
	v_mov_b32_e32 v83, v85
	v_mov_b32_e32 v29, v27
	ds_write2_b64 v2, v[42:43], v[44:45] offset0:56 offset1:175
	v_pk_add_f32 v[42:43], v[0:1], v[82:83]
	v_mov_b32_e32 v89, v91
	v_pk_add_f32 v[26:27], v[0:1], v[28:29]
	v_mov_b32_e32 v33, v31
	;; [unrolled: 2-line block ×10, first 2 shown]
	v_pk_add_f32 v[42:43], v[106:107], v[42:43]
	v_pk_add_f32 v[26:27], v[78:79], v[26:27]
	v_add_u32_e32 v5, 0x2400, v92
	ds_write2_b64 v5, v[42:43], v[26:27] offset0:38 offset1:157
	v_mov_b32_e32 v5, v3
	v_pk_add_f32 v[0:1], v[0:1], v[4:5]
	v_mov_b32_e32 v9, v7
	v_pk_add_f32 v[0:1], v[8:9], v[0:1]
	;; [unrolled: 2-line block ×6, first 2 shown]
	ds_write_b64 v92, v[0:1] offset:11424
	s_waitcnt lgkmcnt(0)
	s_barrier
	s_and_b64 exec, exec, s[4:5]
	s_cbranch_execz .LBB0_23
; %bb.22:
	global_load_dwordx2 v[0:1], v92, s[12:13]
	ds_read_b64 v[4:5], v92
	v_accvgpr_read_b32 v18, a0
	v_mad_u64_u32 v[10:11], s[0:1], s10, v18, 0
	v_mad_u64_u32 v[12:13], s[4:5], s8, v93, 0
	v_mov_b32_e32 v14, v11
	s_mov_b32 s0, 0x152e8015
	v_mov_b32_e32 v16, v13
	v_mad_u64_u32 v[14:15], s[4:5], s11, v18, v[14:15]
	v_mov_b32_e32 v8, s14
	v_mov_b32_e32 v9, s15
	s_mov_b32 s1, 0x3f452e80
	v_mad_u64_u32 v[16:17], s[4:5], s9, v93, v[16:17]
	v_mov_b32_e32 v11, v14
	v_mov_b32_e32 v13, v16
	v_lshl_add_u64 v[8:9], v[10:11], 3, v[8:9]
	v_lshl_add_u64 v[12:13], v[12:13], 3, v[8:9]
	ds_read2_b64 v[8:11], v92 offset0:91 offset1:182
	v_mov_b32_e32 v14, 0x2d8
	s_mul_i32 s2, s9, 0x2d8
	v_mov_b32_e32 v93, 0
	s_waitcnt vmcnt(0) lgkmcnt(1)
	v_mul_f32_e32 v3, v5, v1
	v_mul_f32_e32 v1, v4, v1
	v_fmac_f32_e32 v3, v4, v0
	v_fma_f32 v4, v0, v5, -v1
	v_cvt_f64_f32_e32 v[0:1], v3
	v_cvt_f64_f32_e32 v[4:5], v4
	v_mul_f64 v[0:1], v[0:1], s[0:1]
	v_mul_f64 v[4:5], v[4:5], s[0:1]
	v_cvt_f32_f64_e32 v0, v[0:1]
	v_cvt_f32_f64_e32 v1, v[4:5]
	global_store_dwordx2 v[12:13], v[0:1], off
	global_load_dwordx2 v[0:1], v92, s[12:13] offset:728
	v_mad_u64_u32 v[4:5], s[4:5], s8, v14, v[12:13]
	v_add_u32_e32 v5, s2, v5
	s_waitcnt vmcnt(0) lgkmcnt(0)
	v_mul_f32_e32 v3, v9, v1
	v_mul_f32_e32 v1, v8, v1
	v_fmac_f32_e32 v3, v8, v0
	v_fma_f32 v7, v0, v9, -v1
	v_cvt_f64_f32_e32 v[0:1], v3
	v_cvt_f64_f32_e32 v[8:9], v7
	v_mul_f64 v[0:1], v[0:1], s[0:1]
	v_mul_f64 v[8:9], v[8:9], s[0:1]
	v_cvt_f32_f64_e32 v0, v[0:1]
	v_cvt_f32_f64_e32 v1, v[8:9]
	global_store_dwordx2 v[4:5], v[0:1], off
	global_load_dwordx2 v[0:1], v92, s[12:13] offset:1456
	v_mad_u64_u32 v[4:5], s[4:5], s8, v14, v[4:5]
	v_add_u32_e32 v5, s2, v5
	s_waitcnt vmcnt(0)
	v_mul_f32_e32 v3, v11, v1
	v_mul_f32_e32 v1, v10, v1
	v_fmac_f32_e32 v3, v10, v0
	v_fma_f32 v7, v0, v11, -v1
	v_cvt_f64_f32_e32 v[0:1], v3
	v_cvt_f64_f32_e32 v[8:9], v7
	v_mul_f64 v[0:1], v[0:1], s[0:1]
	v_mul_f64 v[8:9], v[8:9], s[0:1]
	v_cvt_f32_f64_e32 v0, v[0:1]
	v_cvt_f32_f64_e32 v1, v[8:9]
	global_store_dwordx2 v[4:5], v[0:1], off
	global_load_dwordx2 v[0:1], v92, s[12:13] offset:2184
	ds_read2_b64 v[8:11], v56 offset0:17 offset1:108
	v_mad_u64_u32 v[4:5], s[4:5], s8, v14, v[4:5]
	v_add_u32_e32 v5, s2, v5
	s_waitcnt vmcnt(0) lgkmcnt(0)
	v_mul_f32_e32 v3, v9, v1
	v_mul_f32_e32 v1, v8, v1
	v_fmac_f32_e32 v3, v8, v0
	v_fma_f32 v7, v0, v9, -v1
	v_cvt_f64_f32_e32 v[0:1], v3
	v_cvt_f64_f32_e32 v[8:9], v7
	v_mul_f64 v[0:1], v[0:1], s[0:1]
	v_mul_f64 v[8:9], v[8:9], s[0:1]
	v_cvt_f32_f64_e32 v0, v[0:1]
	v_cvt_f32_f64_e32 v1, v[8:9]
	global_store_dwordx2 v[4:5], v[0:1], off
	global_load_dwordx2 v[0:1], v92, s[12:13] offset:2912
	v_mad_u64_u32 v[8:9], s[4:5], s8, v14, v[4:5]
	v_add_u32_e32 v9, s2, v9
	s_waitcnt vmcnt(0)
	v_mul_f32_e32 v3, v11, v1
	v_mul_f32_e32 v1, v10, v1
	v_fmac_f32_e32 v3, v10, v0
	v_fma_f32 v4, v0, v11, -v1
	v_cvt_f64_f32_e32 v[0:1], v3
	v_cvt_f64_f32_e32 v[4:5], v4
	v_mul_f64 v[0:1], v[0:1], s[0:1]
	v_mul_f64 v[4:5], v[4:5], s[0:1]
	v_cvt_f32_f64_e32 v0, v[0:1]
	v_cvt_f32_f64_e32 v1, v[4:5]
	global_store_dwordx2 v[8:9], v[0:1], off
	global_load_dwordx2 v[0:1], v92, s[12:13] offset:3640
	ds_read2_b64 v[4:7], v6 offset0:71 offset1:162
	v_lshl_add_u64 v[10:11], s[12:13], 0, v[92:93]
	v_mad_u64_u32 v[8:9], s[4:5], s8, v14, v[8:9]
	v_add_co_u32_e32 v12, vcc, s7, v10
	v_add_u32_e32 v9, s2, v9
	s_nop 0
	v_addc_co_u32_e32 v13, vcc, 0, v11, vcc
	s_waitcnt vmcnt(0) lgkmcnt(0)
	v_mul_f32_e32 v3, v5, v1
	v_mul_f32_e32 v1, v4, v1
	v_fmac_f32_e32 v3, v4, v0
	v_fma_f32 v4, v0, v5, -v1
	v_cvt_f64_f32_e32 v[0:1], v3
	v_cvt_f64_f32_e32 v[4:5], v4
	v_mul_f64 v[0:1], v[0:1], s[0:1]
	v_mul_f64 v[4:5], v[4:5], s[0:1]
	v_cvt_f32_f64_e32 v0, v[0:1]
	v_cvt_f32_f64_e32 v1, v[4:5]
	global_store_dwordx2 v[8:9], v[0:1], off
	global_load_dwordx2 v[0:1], v[12:13], off offset:272
	v_mad_u64_u32 v[8:9], s[4:5], s8, v14, v[8:9]
	v_add_u32_e32 v9, s2, v9
	s_waitcnt vmcnt(0)
	v_mul_f32_e32 v3, v7, v1
	v_mul_f32_e32 v1, v6, v1
	v_fmac_f32_e32 v3, v6, v0
	v_fma_f32 v4, v0, v7, -v1
	v_cvt_f64_f32_e32 v[0:1], v3
	v_cvt_f64_f32_e32 v[4:5], v4
	v_mul_f64 v[0:1], v[0:1], s[0:1]
	v_mul_f64 v[4:5], v[4:5], s[0:1]
	v_cvt_f32_f64_e32 v0, v[0:1]
	v_cvt_f32_f64_e32 v1, v[4:5]
	global_store_dwordx2 v[8:9], v[0:1], off
	global_load_dwordx2 v[0:1], v[12:13], off offset:1000
	ds_read2_b64 v[4:7], v55 offset0:125 offset1:216
	v_mad_u64_u32 v[8:9], s[4:5], s8, v14, v[8:9]
	v_add_u32_e32 v9, s2, v9
	s_waitcnt vmcnt(0) lgkmcnt(0)
	v_mul_f32_e32 v3, v5, v1
	v_mul_f32_e32 v1, v4, v1
	v_fmac_f32_e32 v3, v4, v0
	v_fma_f32 v4, v0, v5, -v1
	v_cvt_f64_f32_e32 v[0:1], v3
	v_cvt_f64_f32_e32 v[4:5], v4
	v_mul_f64 v[0:1], v[0:1], s[0:1]
	v_mul_f64 v[4:5], v[4:5], s[0:1]
	v_cvt_f32_f64_e32 v0, v[0:1]
	v_cvt_f32_f64_e32 v1, v[4:5]
	global_store_dwordx2 v[8:9], v[0:1], off
	global_load_dwordx2 v[0:1], v[12:13], off offset:1728
	v_mad_u64_u32 v[8:9], s[4:5], s8, v14, v[8:9]
	v_add_u32_e32 v9, s2, v9
	s_waitcnt vmcnt(0)
	v_mul_f32_e32 v3, v7, v1
	v_mul_f32_e32 v1, v6, v1
	v_fmac_f32_e32 v3, v6, v0
	v_fma_f32 v4, v0, v7, -v1
	v_cvt_f64_f32_e32 v[0:1], v3
	v_cvt_f64_f32_e32 v[4:5], v4
	v_mul_f64 v[0:1], v[0:1], s[0:1]
	v_mul_f64 v[4:5], v[4:5], s[0:1]
	v_cvt_f32_f64_e32 v0, v[0:1]
	v_cvt_f32_f64_e32 v1, v[4:5]
	global_store_dwordx2 v[8:9], v[0:1], off
	global_load_dwordx2 v[0:1], v[12:13], off offset:2456
	ds_read2_b64 v[4:7], v54 offset0:51 offset1:142
	v_mad_u64_u32 v[8:9], s[4:5], s8, v14, v[8:9]
	v_add_u32_e32 v9, s2, v9
	s_waitcnt vmcnt(0) lgkmcnt(0)
	v_mul_f32_e32 v3, v5, v1
	v_mul_f32_e32 v1, v4, v1
	v_fmac_f32_e32 v3, v4, v0
	v_fma_f32 v4, v0, v5, -v1
	v_cvt_f64_f32_e32 v[0:1], v3
	v_cvt_f64_f32_e32 v[4:5], v4
	v_mul_f64 v[0:1], v[0:1], s[0:1]
	v_mul_f64 v[4:5], v[4:5], s[0:1]
	v_cvt_f32_f64_e32 v0, v[0:1]
	v_cvt_f32_f64_e32 v1, v[4:5]
	global_store_dwordx2 v[8:9], v[0:1], off
	global_load_dwordx2 v[0:1], v[12:13], off offset:3184
	v_mad_u64_u32 v[4:5], s[4:5], s8, v14, v[8:9]
	v_add_u32_e32 v5, s2, v5
	v_add_co_u32_e32 v8, vcc, s3, v10
	s_waitcnt vmcnt(0)
	v_mul_f32_e32 v3, v7, v1
	v_mul_f32_e32 v1, v6, v1
	v_fmac_f32_e32 v3, v6, v0
	v_fma_f32 v6, v0, v7, -v1
	v_cvt_f64_f32_e32 v[0:1], v3
	v_cvt_f64_f32_e32 v[6:7], v6
	v_mul_f64 v[0:1], v[0:1], s[0:1]
	v_mul_f64 v[6:7], v[6:7], s[0:1]
	v_cvt_f32_f64_e32 v0, v[0:1]
	v_cvt_f32_f64_e32 v1, v[6:7]
	global_store_dwordx2 v[4:5], v[0:1], off
	global_load_dwordx2 v[6:7], v[12:13], off offset:3912
	ds_read2_b64 v[0:3], v2 offset0:105 offset1:196
	v_mad_u64_u32 v[4:5], s[4:5], s8, v14, v[4:5]
	v_add_u32_e32 v5, s2, v5
	v_addc_co_u32_e32 v9, vcc, 0, v11, vcc
	s_waitcnt vmcnt(0) lgkmcnt(0)
	v_mul_f32_e32 v10, v1, v7
	v_mul_f32_e32 v7, v0, v7
	v_fmac_f32_e32 v10, v0, v6
	v_fma_f32 v6, v6, v1, -v7
	v_cvt_f64_f32_e32 v[0:1], v10
	v_cvt_f64_f32_e32 v[6:7], v6
	v_mul_f64 v[0:1], v[0:1], s[0:1]
	v_mul_f64 v[6:7], v[6:7], s[0:1]
	v_cvt_f32_f64_e32 v0, v[0:1]
	v_cvt_f32_f64_e32 v1, v[6:7]
	global_store_dwordx2 v[4:5], v[0:1], off
	global_load_dwordx2 v[0:1], v[8:9], off offset:544
	v_mad_u64_u32 v[4:5], s[4:5], s8, v14, v[4:5]
	v_add_u32_e32 v5, s2, v5
	s_waitcnt vmcnt(0)
	v_mul_f32_e32 v6, v3, v1
	v_mul_f32_e32 v1, v2, v1
	v_fmac_f32_e32 v6, v2, v0
	v_fma_f32 v2, v0, v3, -v1
	v_cvt_f64_f32_e32 v[0:1], v6
	v_cvt_f64_f32_e32 v[2:3], v2
	v_mul_f64 v[0:1], v[0:1], s[0:1]
	v_mul_f64 v[2:3], v[2:3], s[0:1]
	v_cvt_f32_f64_e32 v0, v[0:1]
	v_cvt_f32_f64_e32 v1, v[2:3]
	global_store_dwordx2 v[4:5], v[0:1], off
	global_load_dwordx2 v[6:7], v[8:9], off offset:1272
	ds_read2_b64 v[0:3], v53 offset0:159 offset1:250
	v_mad_u64_u32 v[4:5], s[4:5], s8, v14, v[4:5]
	v_add_u32_e32 v5, s2, v5
	s_waitcnt vmcnt(0) lgkmcnt(0)
	v_mul_f32_e32 v10, v1, v7
	v_mul_f32_e32 v7, v0, v7
	v_fmac_f32_e32 v10, v0, v6
	v_fma_f32 v6, v6, v1, -v7
	v_cvt_f64_f32_e32 v[0:1], v10
	v_cvt_f64_f32_e32 v[6:7], v6
	v_mul_f64 v[0:1], v[0:1], s[0:1]
	v_mul_f64 v[6:7], v[6:7], s[0:1]
	v_cvt_f32_f64_e32 v0, v[0:1]
	v_cvt_f32_f64_e32 v1, v[6:7]
	global_store_dwordx2 v[4:5], v[0:1], off
	global_load_dwordx2 v[0:1], v[8:9], off offset:2000
	v_mad_u64_u32 v[4:5], s[4:5], s8, v14, v[4:5]
	v_add_u32_e32 v5, s2, v5
	s_waitcnt vmcnt(0)
	v_mul_f32_e32 v6, v3, v1
	v_mul_f32_e32 v1, v2, v1
	v_fmac_f32_e32 v6, v2, v0
	v_fma_f32 v2, v0, v3, -v1
	v_cvt_f64_f32_e32 v[0:1], v6
	v_cvt_f64_f32_e32 v[2:3], v2
	v_mul_f64 v[0:1], v[0:1], s[0:1]
	v_mul_f64 v[2:3], v[2:3], s[0:1]
	v_cvt_f32_f64_e32 v0, v[0:1]
	v_cvt_f32_f64_e32 v1, v[2:3]
	global_store_dwordx2 v[4:5], v[0:1], off
	global_load_dwordx2 v[6:7], v[8:9], off offset:2728
	ds_read2_b64 v[0:3], v52 offset0:85 offset1:176
	v_mad_u64_u32 v[4:5], s[4:5], s8, v14, v[4:5]
	v_add_u32_e32 v5, s2, v5
	s_waitcnt vmcnt(0) lgkmcnt(0)
	v_mul_f32_e32 v10, v1, v7
	v_mul_f32_e32 v7, v0, v7
	v_fmac_f32_e32 v10, v0, v6
	v_fma_f32 v6, v6, v1, -v7
	v_cvt_f64_f32_e32 v[0:1], v10
	v_cvt_f64_f32_e32 v[6:7], v6
	v_mul_f64 v[0:1], v[0:1], s[0:1]
	v_mul_f64 v[6:7], v[6:7], s[0:1]
	v_cvt_f32_f64_e32 v0, v[0:1]
	v_cvt_f32_f64_e32 v1, v[6:7]
	global_store_dwordx2 v[4:5], v[0:1], off
	global_load_dwordx2 v[0:1], v[8:9], off offset:3456
	v_mad_u64_u32 v[4:5], s[4:5], s8, v14, v[4:5]
	v_add_u32_e32 v5, s2, v5
	s_waitcnt vmcnt(0)
	v_mul_f32_e32 v6, v3, v1
	v_mul_f32_e32 v1, v2, v1
	v_fmac_f32_e32 v6, v2, v0
	v_fma_f32 v2, v0, v3, -v1
	v_cvt_f64_f32_e32 v[0:1], v6
	v_cvt_f64_f32_e32 v[2:3], v2
	v_mul_f64 v[0:1], v[0:1], s[0:1]
	v_mul_f64 v[2:3], v[2:3], s[0:1]
	v_cvt_f32_f64_e32 v0, v[0:1]
	v_cvt_f32_f64_e32 v1, v[2:3]
	global_store_dwordx2 v[4:5], v[0:1], off
.LBB0_23:
	s_endpgm
	.section	.rodata,"a",@progbits
	.p2align	6, 0x0
	.amdhsa_kernel bluestein_single_back_len1547_dim1_sp_op_CI_CI
		.amdhsa_group_segment_fixed_size 12376
		.amdhsa_private_segment_fixed_size 0
		.amdhsa_kernarg_size 104
		.amdhsa_user_sgpr_count 2
		.amdhsa_user_sgpr_dispatch_ptr 0
		.amdhsa_user_sgpr_queue_ptr 0
		.amdhsa_user_sgpr_kernarg_segment_ptr 1
		.amdhsa_user_sgpr_dispatch_id 0
		.amdhsa_user_sgpr_kernarg_preload_length 0
		.amdhsa_user_sgpr_kernarg_preload_offset 0
		.amdhsa_user_sgpr_private_segment_size 0
		.amdhsa_uses_dynamic_stack 0
		.amdhsa_enable_private_segment 0
		.amdhsa_system_sgpr_workgroup_id_x 1
		.amdhsa_system_sgpr_workgroup_id_y 0
		.amdhsa_system_sgpr_workgroup_id_z 0
		.amdhsa_system_sgpr_workgroup_info 0
		.amdhsa_system_vgpr_workitem_id 0
		.amdhsa_next_free_vgpr 284
		.amdhsa_next_free_sgpr 62
		.amdhsa_accum_offset 256
		.amdhsa_reserve_vcc 1
		.amdhsa_float_round_mode_32 0
		.amdhsa_float_round_mode_16_64 0
		.amdhsa_float_denorm_mode_32 3
		.amdhsa_float_denorm_mode_16_64 3
		.amdhsa_dx10_clamp 1
		.amdhsa_ieee_mode 1
		.amdhsa_fp16_overflow 0
		.amdhsa_tg_split 0
		.amdhsa_exception_fp_ieee_invalid_op 0
		.amdhsa_exception_fp_denorm_src 0
		.amdhsa_exception_fp_ieee_div_zero 0
		.amdhsa_exception_fp_ieee_overflow 0
		.amdhsa_exception_fp_ieee_underflow 0
		.amdhsa_exception_fp_ieee_inexact 0
		.amdhsa_exception_int_div_zero 0
	.end_amdhsa_kernel
	.text
.Lfunc_end0:
	.size	bluestein_single_back_len1547_dim1_sp_op_CI_CI, .Lfunc_end0-bluestein_single_back_len1547_dim1_sp_op_CI_CI
                                        ; -- End function
	.section	.AMDGPU.csdata,"",@progbits
; Kernel info:
; codeLenInByte = 22888
; NumSgprs: 68
; NumVgprs: 256
; NumAgprs: 28
; TotalNumVgprs: 284
; ScratchSize: 0
; MemoryBound: 0
; FloatMode: 240
; IeeeMode: 1
; LDSByteSize: 12376 bytes/workgroup (compile time only)
; SGPRBlocks: 8
; VGPRBlocks: 35
; NumSGPRsForWavesPerEU: 68
; NumVGPRsForWavesPerEU: 284
; AccumOffset: 256
; Occupancy: 1
; WaveLimiterHint : 1
; COMPUTE_PGM_RSRC2:SCRATCH_EN: 0
; COMPUTE_PGM_RSRC2:USER_SGPR: 2
; COMPUTE_PGM_RSRC2:TRAP_HANDLER: 0
; COMPUTE_PGM_RSRC2:TGID_X_EN: 1
; COMPUTE_PGM_RSRC2:TGID_Y_EN: 0
; COMPUTE_PGM_RSRC2:TGID_Z_EN: 0
; COMPUTE_PGM_RSRC2:TIDIG_COMP_CNT: 0
; COMPUTE_PGM_RSRC3_GFX90A:ACCUM_OFFSET: 63
; COMPUTE_PGM_RSRC3_GFX90A:TG_SPLIT: 0
	.text
	.p2alignl 6, 3212836864
	.fill 256, 4, 3212836864
	.type	__hip_cuid_5b21a64eeb7e1be8,@object ; @__hip_cuid_5b21a64eeb7e1be8
	.section	.bss,"aw",@nobits
	.globl	__hip_cuid_5b21a64eeb7e1be8
__hip_cuid_5b21a64eeb7e1be8:
	.byte	0                               ; 0x0
	.size	__hip_cuid_5b21a64eeb7e1be8, 1

	.ident	"AMD clang version 19.0.0git (https://github.com/RadeonOpenCompute/llvm-project roc-6.4.0 25133 c7fe45cf4b819c5991fe208aaa96edf142730f1d)"
	.section	".note.GNU-stack","",@progbits
	.addrsig
	.addrsig_sym __hip_cuid_5b21a64eeb7e1be8
	.amdgpu_metadata
---
amdhsa.kernels:
  - .agpr_count:     28
    .args:
      - .actual_access:  read_only
        .address_space:  global
        .offset:         0
        .size:           8
        .value_kind:     global_buffer
      - .actual_access:  read_only
        .address_space:  global
        .offset:         8
        .size:           8
        .value_kind:     global_buffer
      - .actual_access:  read_only
        .address_space:  global
        .offset:         16
        .size:           8
        .value_kind:     global_buffer
      - .actual_access:  read_only
        .address_space:  global
        .offset:         24
        .size:           8
        .value_kind:     global_buffer
      - .actual_access:  read_only
        .address_space:  global
        .offset:         32
        .size:           8
        .value_kind:     global_buffer
      - .offset:         40
        .size:           8
        .value_kind:     by_value
      - .address_space:  global
        .offset:         48
        .size:           8
        .value_kind:     global_buffer
      - .address_space:  global
        .offset:         56
        .size:           8
        .value_kind:     global_buffer
      - .address_space:  global
        .offset:         64
        .size:           8
        .value_kind:     global_buffer
      - .address_space:  global
        .offset:         72
        .size:           8
        .value_kind:     global_buffer
      - .offset:         80
        .size:           4
        .value_kind:     by_value
      - .address_space:  global
        .offset:         88
        .size:           8
        .value_kind:     global_buffer
      - .address_space:  global
        .offset:         96
        .size:           8
        .value_kind:     global_buffer
    .group_segment_fixed_size: 12376
    .kernarg_segment_align: 8
    .kernarg_segment_size: 104
    .language:       OpenCL C
    .language_version:
      - 2
      - 0
    .max_flat_workgroup_size: 119
    .name:           bluestein_single_back_len1547_dim1_sp_op_CI_CI
    .private_segment_fixed_size: 0
    .sgpr_count:     68
    .sgpr_spill_count: 0
    .symbol:         bluestein_single_back_len1547_dim1_sp_op_CI_CI.kd
    .uniform_work_group_size: 1
    .uses_dynamic_stack: false
    .vgpr_count:     284
    .vgpr_spill_count: 0
    .wavefront_size: 64
amdhsa.target:   amdgcn-amd-amdhsa--gfx950
amdhsa.version:
  - 1
  - 2
...

	.end_amdgpu_metadata
